;; amdgpu-corpus repo=ROCm/hip-tests kind=compiled arch=gfx906 opt=O3
	.amdgcn_target "amdgcn-amd-amdhsa--gfx906"
	.amdhsa_code_object_version 6
	.text
	.protected	_Z33kernel_cg_group_partition_dynamicjPibS_ ; -- Begin function _Z33kernel_cg_group_partition_dynamicjPibS_
	.globl	_Z33kernel_cg_group_partition_dynamicjPibS_
	.p2align	8
	.type	_Z33kernel_cg_group_partition_dynamicjPibS_,@function
_Z33kernel_cg_group_partition_dynamicjPibS_: ; @_Z33kernel_cg_group_partition_dynamicjPibS_
; %bb.0:
	s_mov_b64 s[2:3], src_shared_base
	s_load_dword s2, s[4:5], 0x10
	s_load_dwordx2 s[0:1], s[4:5], 0x2c
	s_load_dwordx2 s[8:9], s[4:5], 0x18
	s_waitcnt lgkmcnt(0)
	s_and_b32 s2, 1, s2
	s_add_u32 s6, s4, 32
	s_addc_u32 s7, s5, 0
	s_and_b32 s10, s1, 0xffff
	s_lshr_b32 s11, s0, 16
	s_and_b32 s0, s0, 0xffff
	s_cmp_lg_u32 0, -1
	v_mad_u32_u24 v1, v2, s11, v1
	s_cselect_b32 s12, 0, 0
	s_cselect_b32 s13, s3, 0
	s_cmp_eq_u32 s2, 1
	v_mad_u64_u32 v[2:3], s[2:3], v1, s0, v[0:1]
	s_mul_i32 s29, s11, s0
	s_mul_i32 s29, s29, s10
	s_mov_b32 s1, 0
	s_cselect_b32 s27, s9, s13
	s_cselect_b32 s28, s8, s12
	v_mov_b32_e32 v34, v2
	s_cmp_lt_u32 s29, 2
	v_mov_b32_e32 v33, v2
	s_cbranch_scc1 .LBB0_6
; %bb.1:
	v_ashrrev_i32_e32 v3, 31, v2
	v_lshlrev_b64 v[0:1], 2, v[2:3]
	v_mov_b32_e32 v3, s27
	v_add_co_u32_e32 v0, vcc, s28, v0
	v_addc_co_u32_e32 v1, vcc, v3, v1, vcc
	s_mov_b32 s8, s29
	v_mov_b32_e32 v33, v34
.LBB0_2:                                ; =>This Inner Loop Header: Depth=1
	s_lshr_b32 s0, s8, 1
	v_cmp_gt_i32_e32 vcc, s0, v2
	flat_store_dword v[0:1], v33
	s_waitcnt vmcnt(0) lgkmcnt(0)
	s_barrier
	s_and_saveexec_b64 s[2:3], vcc
	s_cbranch_execz .LBB0_4
; %bb.3:                                ;   in Loop: Header=BB0_2 Depth=1
	s_lshl_b64 s[10:11], s[0:1], 2
	v_mov_b32_e32 v4, s11
	v_add_co_u32_e32 v3, vcc, s10, v0
	v_addc_co_u32_e32 v4, vcc, v1, v4, vcc
	flat_load_dword v3, v[3:4]
	s_waitcnt vmcnt(0) lgkmcnt(0)
	v_add_u32_e32 v33, v3, v33
.LBB0_4:                                ;   in Loop: Header=BB0_2 Depth=1
	s_or_b64 exec, exec, s[2:3]
	s_cmp_gt_u32 s8, 3
	s_barrier
	s_cbranch_scc0 .LBB0_6
; %bb.5:                                ;   in Loop: Header=BB0_2 Depth=1
	s_mov_b32 s8, s0
	s_branch .LBB0_2
.LBB0_6:
	s_load_dword s26, s[4:5], 0x0
	v_cmp_eq_u32_e64 s[0:1], 0, v2
	s_and_saveexec_b64 s[8:9], s[0:1]
	s_cbranch_execz .LBB0_383
; %bb.7:
	s_load_dwordx2 s[10:11], s[6:7], 0x50
	v_mbcnt_lo_u32_b32 v0, -1, 0
	v_mbcnt_hi_u32_b32 v32, -1, v0
	v_readfirstlane_b32 s2, v32
	v_mov_b32_e32 v0, 0
	v_mov_b32_e32 v1, 0
	v_cmp_eq_u32_e64 s[2:3], s2, v32
	s_and_saveexec_b64 s[12:13], s[2:3]
	s_cbranch_execz .LBB0_13
; %bb.8:
	v_mov_b32_e32 v3, 0
	s_waitcnt lgkmcnt(0)
	global_load_dwordx2 v[6:7], v3, s[10:11] offset:24 glc
	s_waitcnt vmcnt(0)
	buffer_wbinvl1_vol
	global_load_dwordx2 v[0:1], v3, s[10:11] offset:40
	global_load_dwordx2 v[4:5], v3, s[10:11]
	s_waitcnt vmcnt(1)
	v_and_b32_e32 v0, v0, v6
	v_and_b32_e32 v1, v1, v7
	v_mul_lo_u32 v1, v1, 24
	v_mul_hi_u32 v8, v0, 24
	v_mul_lo_u32 v0, v0, 24
	v_add_u32_e32 v1, v8, v1
	s_waitcnt vmcnt(0)
	v_add_co_u32_e32 v0, vcc, v4, v0
	v_addc_co_u32_e32 v1, vcc, v5, v1, vcc
	global_load_dwordx2 v[4:5], v[0:1], off glc
	s_waitcnt vmcnt(0)
	global_atomic_cmpswap_x2 v[0:1], v3, v[4:7], s[10:11] offset:24 glc
	s_waitcnt vmcnt(0)
	buffer_wbinvl1_vol
	v_cmp_ne_u64_e32 vcc, v[0:1], v[6:7]
	s_and_saveexec_b64 s[14:15], vcc
	s_cbranch_execz .LBB0_12
; %bb.9:
	s_mov_b64 s[16:17], 0
.LBB0_10:                               ; =>This Inner Loop Header: Depth=1
	s_sleep 1
	global_load_dwordx2 v[4:5], v3, s[10:11] offset:40
	global_load_dwordx2 v[8:9], v3, s[10:11]
	v_mov_b32_e32 v7, v1
	v_mov_b32_e32 v6, v0
	s_waitcnt vmcnt(1)
	v_and_b32_e32 v0, v4, v6
	s_waitcnt vmcnt(0)
	v_mad_u64_u32 v[0:1], s[18:19], v0, 24, v[8:9]
	v_and_b32_e32 v4, v5, v7
	v_mad_u64_u32 v[4:5], s[18:19], v4, 24, v[1:2]
	v_mov_b32_e32 v1, v4
	global_load_dwordx2 v[4:5], v[0:1], off glc
	s_waitcnt vmcnt(0)
	global_atomic_cmpswap_x2 v[0:1], v3, v[4:7], s[10:11] offset:24 glc
	s_waitcnt vmcnt(0)
	buffer_wbinvl1_vol
	v_cmp_eq_u64_e32 vcc, v[0:1], v[6:7]
	s_or_b64 s[16:17], vcc, s[16:17]
	s_andn2_b64 exec, exec, s[16:17]
	s_cbranch_execnz .LBB0_10
; %bb.11:
	s_or_b64 exec, exec, s[16:17]
.LBB0_12:
	s_or_b64 exec, exec, s[14:15]
.LBB0_13:
	s_or_b64 exec, exec, s[12:13]
	v_mov_b32_e32 v7, 0
	s_waitcnt lgkmcnt(0)
	global_load_dwordx2 v[8:9], v7, s[10:11] offset:40
	global_load_dwordx4 v[3:6], v7, s[10:11]
	v_readfirstlane_b32 s13, v1
	v_readfirstlane_b32 s12, v0
	s_mov_b64 s[14:15], exec
	s_waitcnt vmcnt(1)
	v_readfirstlane_b32 s16, v8
	v_readfirstlane_b32 s17, v9
	s_and_b64 s[16:17], s[16:17], s[12:13]
	s_mul_i32 s18, s17, 24
	s_mul_hi_u32 s19, s16, 24
	s_mul_i32 s20, s16, 24
	s_add_i32 s18, s19, s18
	v_mov_b32_e32 v1, s18
	s_waitcnt vmcnt(0)
	v_add_co_u32_e32 v0, vcc, s20, v3
	v_addc_co_u32_e32 v1, vcc, v4, v1, vcc
	s_and_saveexec_b64 s[18:19], s[2:3]
	s_cbranch_execz .LBB0_15
; %bb.14:
	v_mov_b32_e32 v8, s14
	v_mov_b32_e32 v9, s15
	;; [unrolled: 1-line block ×4, first 2 shown]
	global_store_dwordx4 v[0:1], v[8:11], off offset:8
.LBB0_15:
	s_or_b64 exec, exec, s[18:19]
	s_lshl_b64 s[14:15], s[16:17], 12
	v_mov_b32_e32 v8, s15
	v_add_co_u32_e32 v5, vcc, s14, v5
	v_addc_co_u32_e32 v12, vcc, v6, v8, vcc
	v_lshlrev_b32_e32 v31, 6, v32
	s_mov_b32 s16, 0
	v_mov_b32_e32 v6, 33
	v_mov_b32_e32 v8, v7
	;; [unrolled: 1-line block ×3, first 2 shown]
	v_readfirstlane_b32 s14, v5
	v_readfirstlane_b32 s15, v12
	v_add_co_u32_e32 v10, vcc, v5, v31
	s_mov_b32 s17, s16
	s_mov_b32 s18, s16
	;; [unrolled: 1-line block ×3, first 2 shown]
	s_nop 0
	global_store_dwordx4 v31, v[6:9], s[14:15]
	v_mov_b32_e32 v5, s16
	v_addc_co_u32_e32 v11, vcc, 0, v12, vcc
	v_mov_b32_e32 v6, s17
	v_mov_b32_e32 v7, s18
	;; [unrolled: 1-line block ×3, first 2 shown]
	global_store_dwordx4 v31, v[5:8], s[14:15] offset:16
	global_store_dwordx4 v31, v[5:8], s[14:15] offset:32
	;; [unrolled: 1-line block ×3, first 2 shown]
	s_and_saveexec_b64 s[14:15], s[2:3]
	s_cbranch_execz .LBB0_23
; %bb.16:
	v_mov_b32_e32 v9, 0
	global_load_dwordx2 v[14:15], v9, s[10:11] offset:32 glc
	global_load_dwordx2 v[5:6], v9, s[10:11] offset:40
	v_mov_b32_e32 v12, s12
	v_mov_b32_e32 v13, s13
	s_waitcnt vmcnt(0)
	v_and_b32_e32 v5, s12, v5
	v_and_b32_e32 v6, s13, v6
	v_mul_lo_u32 v6, v6, 24
	v_mul_hi_u32 v7, v5, 24
	v_mul_lo_u32 v5, v5, 24
	v_add_u32_e32 v6, v7, v6
	v_add_co_u32_e32 v7, vcc, v3, v5
	v_addc_co_u32_e32 v8, vcc, v4, v6, vcc
	global_store_dwordx2 v[7:8], v[14:15], off
	s_waitcnt vmcnt(0)
	global_atomic_cmpswap_x2 v[5:6], v9, v[12:15], s[10:11] offset:32 glc
	s_waitcnt vmcnt(0)
	v_cmp_ne_u64_e32 vcc, v[5:6], v[14:15]
	s_and_saveexec_b64 s[16:17], vcc
	s_cbranch_execz .LBB0_19
; %bb.17:
	s_mov_b64 s[18:19], 0
.LBB0_18:                               ; =>This Inner Loop Header: Depth=1
	s_sleep 1
	global_store_dwordx2 v[7:8], v[5:6], off
	v_mov_b32_e32 v3, s12
	v_mov_b32_e32 v4, s13
	s_waitcnt vmcnt(0)
	global_atomic_cmpswap_x2 v[3:4], v9, v[3:6], s[10:11] offset:32 glc
	s_waitcnt vmcnt(0)
	v_cmp_eq_u64_e32 vcc, v[3:4], v[5:6]
	v_mov_b32_e32 v6, v4
	s_or_b64 s[18:19], vcc, s[18:19]
	v_mov_b32_e32 v5, v3
	s_andn2_b64 exec, exec, s[18:19]
	s_cbranch_execnz .LBB0_18
.LBB0_19:
	s_or_b64 exec, exec, s[16:17]
	v_mov_b32_e32 v6, 0
	global_load_dwordx2 v[3:4], v6, s[10:11] offset:16
	s_mov_b64 s[16:17], exec
	v_mbcnt_lo_u32_b32 v5, s16, 0
	v_mbcnt_hi_u32_b32 v5, s17, v5
	v_cmp_eq_u32_e32 vcc, 0, v5
	s_and_saveexec_b64 s[18:19], vcc
	s_cbranch_execz .LBB0_21
; %bb.20:
	s_bcnt1_i32_b64 s16, s[16:17]
	v_mov_b32_e32 v5, s16
	s_waitcnt vmcnt(0)
	global_atomic_add_x2 v[3:4], v[5:6], off offset:8
.LBB0_21:
	s_or_b64 exec, exec, s[18:19]
	s_waitcnt vmcnt(0)
	global_load_dwordx2 v[5:6], v[3:4], off offset:16
	s_waitcnt vmcnt(0)
	v_cmp_eq_u64_e32 vcc, 0, v[5:6]
	s_cbranch_vccnz .LBB0_23
; %bb.22:
	global_load_dword v3, v[3:4], off offset:24
	v_mov_b32_e32 v4, 0
	s_waitcnt vmcnt(0)
	v_readfirstlane_b32 s16, v3
	s_and_b32 m0, s16, 0xffffff
	global_store_dwordx2 v[5:6], v[3:4], off
	s_sendmsg sendmsg(MSG_INTERRUPT)
.LBB0_23:
	s_or_b64 exec, exec, s[14:15]
	s_branch .LBB0_27
.LBB0_24:                               ;   in Loop: Header=BB0_27 Depth=1
	s_or_b64 exec, exec, s[14:15]
	v_readfirstlane_b32 s14, v3
	s_cmp_eq_u32 s14, 0
	s_cbranch_scc1 .LBB0_26
; %bb.25:                               ;   in Loop: Header=BB0_27 Depth=1
	s_sleep 1
	s_cbranch_execnz .LBB0_27
	s_branch .LBB0_29
.LBB0_26:
	s_branch .LBB0_29
.LBB0_27:                               ; =>This Inner Loop Header: Depth=1
	v_mov_b32_e32 v3, 1
	s_and_saveexec_b64 s[14:15], s[2:3]
	s_cbranch_execz .LBB0_24
; %bb.28:                               ;   in Loop: Header=BB0_27 Depth=1
	global_load_dword v3, v[0:1], off offset:20 glc
	s_waitcnt vmcnt(0)
	buffer_wbinvl1_vol
	v_and_b32_e32 v3, 1, v3
	s_branch .LBB0_24
.LBB0_29:
	global_load_dwordx2 v[3:4], v[10:11], off
	s_and_saveexec_b64 s[14:15], s[2:3]
	s_cbranch_execz .LBB0_32
; %bb.30:
	v_mov_b32_e32 v9, 0
	global_load_dwordx2 v[0:1], v9, s[10:11] offset:40
	global_load_dwordx2 v[12:13], v9, s[10:11] offset:24 glc
	global_load_dwordx2 v[5:6], v9, s[10:11]
	s_waitcnt vmcnt(2)
	v_readfirstlane_b32 s16, v0
	v_readfirstlane_b32 s17, v1
	s_add_u32 s18, s16, 1
	s_addc_u32 s19, s17, 0
	s_add_u32 s2, s18, s12
	s_addc_u32 s3, s19, s13
	s_cmp_eq_u64 s[2:3], 0
	s_cselect_b32 s3, s19, s3
	s_cselect_b32 s2, s18, s2
	s_and_b64 s[12:13], s[2:3], s[16:17]
	s_mul_i32 s13, s13, 24
	s_mul_hi_u32 s16, s12, 24
	s_mul_i32 s12, s12, 24
	s_add_i32 s13, s16, s13
	v_mov_b32_e32 v1, s13
	s_waitcnt vmcnt(0)
	v_add_co_u32_e32 v0, vcc, s12, v5
	v_addc_co_u32_e32 v1, vcc, v6, v1, vcc
	v_mov_b32_e32 v10, s2
	global_store_dwordx2 v[0:1], v[12:13], off
	v_mov_b32_e32 v11, s3
	s_waitcnt vmcnt(0)
	global_atomic_cmpswap_x2 v[7:8], v9, v[10:13], s[10:11] offset:24 glc
	s_mov_b64 s[12:13], 0
	s_waitcnt vmcnt(0)
	v_cmp_ne_u64_e32 vcc, v[7:8], v[12:13]
	s_and_b64 exec, exec, vcc
	s_cbranch_execz .LBB0_32
.LBB0_31:                               ; =>This Inner Loop Header: Depth=1
	s_sleep 1
	global_store_dwordx2 v[0:1], v[7:8], off
	v_mov_b32_e32 v5, s2
	v_mov_b32_e32 v6, s3
	s_waitcnt vmcnt(0)
	global_atomic_cmpswap_x2 v[5:6], v9, v[5:8], s[10:11] offset:24 glc
	s_waitcnt vmcnt(0)
	v_cmp_eq_u64_e32 vcc, v[5:6], v[7:8]
	v_mov_b32_e32 v8, v6
	s_or_b64 s[12:13], vcc, s[12:13]
	v_mov_b32_e32 v7, v5
	s_andn2_b64 exec, exec, s[12:13]
	s_cbranch_execnz .LBB0_31
.LBB0_32:
	s_or_b64 exec, exec, s[14:15]
	s_getpc_b64 s[12:13]
	s_add_u32 s12, s12, .str@rel32@lo+4
	s_addc_u32 s13, s13, .str@rel32@hi+12
	s_cmp_lg_u64 s[12:13], 0
	s_cbranch_scc0 .LBB0_118
; %bb.33:
	s_waitcnt vmcnt(0)
	v_and_b32_e32 v35, 2, v3
	v_mov_b32_e32 v1, 0
	v_and_b32_e32 v5, -3, v3
	v_mov_b32_e32 v6, v4
	s_mov_b64 s[14:15], 0x42
	v_mov_b32_e32 v11, 2
	v_mov_b32_e32 v12, 1
	s_branch .LBB0_35
.LBB0_34:                               ;   in Loop: Header=BB0_35 Depth=1
	s_or_b64 exec, exec, s[20:21]
	s_sub_u32 s14, s14, s16
	s_subb_u32 s15, s15, s17
	s_add_u32 s12, s12, s16
	s_addc_u32 s13, s13, s17
	s_cmp_lg_u64 s[14:15], 0
	s_cbranch_scc0 .LBB0_117
.LBB0_35:                               ; =>This Loop Header: Depth=1
                                        ;     Child Loop BB0_38 Depth 2
                                        ;     Child Loop BB0_46 Depth 2
                                        ;     Child Loop BB0_54 Depth 2
                                        ;     Child Loop BB0_62 Depth 2
                                        ;     Child Loop BB0_70 Depth 2
                                        ;     Child Loop BB0_78 Depth 2
                                        ;     Child Loop BB0_86 Depth 2
                                        ;     Child Loop BB0_94 Depth 2
                                        ;     Child Loop BB0_102 Depth 2
                                        ;     Child Loop BB0_111 Depth 2
                                        ;     Child Loop BB0_116 Depth 2
	v_cmp_lt_u64_e64 s[2:3], s[14:15], 56
	v_cmp_gt_u64_e64 s[18:19], s[14:15], 7
	s_and_b64 s[2:3], s[2:3], exec
	s_cselect_b32 s17, s15, 0
	s_cselect_b32 s16, s14, 56
	s_add_u32 s2, s12, 8
	s_addc_u32 s3, s13, 0
	s_and_b64 vcc, exec, s[18:19]
	s_cbranch_vccnz .LBB0_39
; %bb.36:                               ;   in Loop: Header=BB0_35 Depth=1
	s_cmp_eq_u64 s[14:15], 0
	s_cbranch_scc1 .LBB0_40
; %bb.37:                               ;   in Loop: Header=BB0_35 Depth=1
	v_mov_b32_e32 v7, 0
	s_lshl_b64 s[2:3], s[16:17], 3
	s_mov_b64 s[18:19], 0
	v_mov_b32_e32 v8, 0
	s_mov_b64 s[20:21], s[12:13]
.LBB0_38:                               ;   Parent Loop BB0_35 Depth=1
                                        ; =>  This Inner Loop Header: Depth=2
	global_load_ubyte v0, v1, s[20:21]
	s_waitcnt vmcnt(0)
	v_and_b32_e32 v0, 0xffff, v0
	v_lshlrev_b64 v[9:10], s18, v[0:1]
	s_add_u32 s18, s18, 8
	s_addc_u32 s19, s19, 0
	s_add_u32 s20, s20, 1
	s_addc_u32 s21, s21, 0
	v_or_b32_e32 v7, v9, v7
	s_cmp_lg_u32 s2, s18
	v_or_b32_e32 v8, v10, v8
	s_cbranch_scc1 .LBB0_38
	s_branch .LBB0_41
.LBB0_39:                               ;   in Loop: Header=BB0_35 Depth=1
	s_mov_b32 s22, 0
	s_branch .LBB0_42
.LBB0_40:                               ;   in Loop: Header=BB0_35 Depth=1
	v_mov_b32_e32 v7, 0
	v_mov_b32_e32 v8, 0
.LBB0_41:                               ;   in Loop: Header=BB0_35 Depth=1
	s_mov_b64 s[2:3], s[12:13]
	s_mov_b32 s22, 0
	s_cbranch_execnz .LBB0_43
.LBB0_42:                               ;   in Loop: Header=BB0_35 Depth=1
	global_load_dwordx2 v[7:8], v1, s[12:13]
	s_add_i32 s22, s16, -8
.LBB0_43:                               ;   in Loop: Header=BB0_35 Depth=1
	s_add_u32 s18, s2, 8
	s_addc_u32 s19, s3, 0
	s_cmp_gt_u32 s22, 7
	s_cbranch_scc1 .LBB0_47
; %bb.44:                               ;   in Loop: Header=BB0_35 Depth=1
	s_cmp_eq_u32 s22, 0
	s_cbranch_scc1 .LBB0_48
; %bb.45:                               ;   in Loop: Header=BB0_35 Depth=1
	v_mov_b32_e32 v13, 0
	s_mov_b64 s[18:19], 0
	v_mov_b32_e32 v14, 0
	s_mov_b64 s[20:21], 0
.LBB0_46:                               ;   Parent Loop BB0_35 Depth=1
                                        ; =>  This Inner Loop Header: Depth=2
	s_add_u32 s24, s2, s20
	s_addc_u32 s25, s3, s21
	global_load_ubyte v0, v1, s[24:25]
	s_add_u32 s20, s20, 1
	s_addc_u32 s21, s21, 0
	s_waitcnt vmcnt(0)
	v_and_b32_e32 v0, 0xffff, v0
	v_lshlrev_b64 v[9:10], s18, v[0:1]
	s_add_u32 s18, s18, 8
	s_addc_u32 s19, s19, 0
	v_or_b32_e32 v13, v9, v13
	s_cmp_lg_u32 s22, s20
	v_or_b32_e32 v14, v10, v14
	s_cbranch_scc1 .LBB0_46
	s_branch .LBB0_49
.LBB0_47:                               ;   in Loop: Header=BB0_35 Depth=1
                                        ; implicit-def: $vgpr13_vgpr14
	s_mov_b32 s23, 0
	s_branch .LBB0_50
.LBB0_48:                               ;   in Loop: Header=BB0_35 Depth=1
	v_mov_b32_e32 v13, 0
	v_mov_b32_e32 v14, 0
.LBB0_49:                               ;   in Loop: Header=BB0_35 Depth=1
	s_mov_b64 s[18:19], s[2:3]
	s_mov_b32 s23, 0
	s_cbranch_execnz .LBB0_51
.LBB0_50:                               ;   in Loop: Header=BB0_35 Depth=1
	global_load_dwordx2 v[13:14], v1, s[2:3]
	s_add_i32 s23, s22, -8
.LBB0_51:                               ;   in Loop: Header=BB0_35 Depth=1
	s_add_u32 s2, s18, 8
	s_addc_u32 s3, s19, 0
	s_cmp_gt_u32 s23, 7
	s_cbranch_scc1 .LBB0_55
; %bb.52:                               ;   in Loop: Header=BB0_35 Depth=1
	s_cmp_eq_u32 s23, 0
	s_cbranch_scc1 .LBB0_56
; %bb.53:                               ;   in Loop: Header=BB0_35 Depth=1
	v_mov_b32_e32 v15, 0
	s_mov_b64 s[2:3], 0
	v_mov_b32_e32 v16, 0
	s_mov_b64 s[20:21], 0
.LBB0_54:                               ;   Parent Loop BB0_35 Depth=1
                                        ; =>  This Inner Loop Header: Depth=2
	s_add_u32 s24, s18, s20
	s_addc_u32 s25, s19, s21
	global_load_ubyte v0, v1, s[24:25]
	s_add_u32 s20, s20, 1
	s_addc_u32 s21, s21, 0
	s_waitcnt vmcnt(0)
	v_and_b32_e32 v0, 0xffff, v0
	v_lshlrev_b64 v[9:10], s2, v[0:1]
	s_add_u32 s2, s2, 8
	s_addc_u32 s3, s3, 0
	v_or_b32_e32 v15, v9, v15
	s_cmp_lg_u32 s23, s20
	v_or_b32_e32 v16, v10, v16
	s_cbranch_scc1 .LBB0_54
	s_branch .LBB0_57
.LBB0_55:                               ;   in Loop: Header=BB0_35 Depth=1
	s_mov_b32 s22, 0
	s_branch .LBB0_58
.LBB0_56:                               ;   in Loop: Header=BB0_35 Depth=1
	v_mov_b32_e32 v15, 0
	v_mov_b32_e32 v16, 0
.LBB0_57:                               ;   in Loop: Header=BB0_35 Depth=1
	s_mov_b64 s[2:3], s[18:19]
	s_mov_b32 s22, 0
	s_cbranch_execnz .LBB0_59
.LBB0_58:                               ;   in Loop: Header=BB0_35 Depth=1
	global_load_dwordx2 v[15:16], v1, s[18:19]
	s_add_i32 s22, s23, -8
.LBB0_59:                               ;   in Loop: Header=BB0_35 Depth=1
	s_add_u32 s18, s2, 8
	s_addc_u32 s19, s3, 0
	s_cmp_gt_u32 s22, 7
	s_cbranch_scc1 .LBB0_63
; %bb.60:                               ;   in Loop: Header=BB0_35 Depth=1
	s_cmp_eq_u32 s22, 0
	s_cbranch_scc1 .LBB0_64
; %bb.61:                               ;   in Loop: Header=BB0_35 Depth=1
	v_mov_b32_e32 v17, 0
	s_mov_b64 s[18:19], 0
	v_mov_b32_e32 v18, 0
	s_mov_b64 s[20:21], 0
.LBB0_62:                               ;   Parent Loop BB0_35 Depth=1
                                        ; =>  This Inner Loop Header: Depth=2
	s_add_u32 s24, s2, s20
	s_addc_u32 s25, s3, s21
	global_load_ubyte v0, v1, s[24:25]
	s_add_u32 s20, s20, 1
	s_addc_u32 s21, s21, 0
	s_waitcnt vmcnt(0)
	v_and_b32_e32 v0, 0xffff, v0
	v_lshlrev_b64 v[9:10], s18, v[0:1]
	s_add_u32 s18, s18, 8
	s_addc_u32 s19, s19, 0
	v_or_b32_e32 v17, v9, v17
	s_cmp_lg_u32 s22, s20
	v_or_b32_e32 v18, v10, v18
	s_cbranch_scc1 .LBB0_62
	s_branch .LBB0_65
.LBB0_63:                               ;   in Loop: Header=BB0_35 Depth=1
                                        ; implicit-def: $vgpr17_vgpr18
	s_mov_b32 s23, 0
	s_branch .LBB0_66
.LBB0_64:                               ;   in Loop: Header=BB0_35 Depth=1
	v_mov_b32_e32 v17, 0
	v_mov_b32_e32 v18, 0
.LBB0_65:                               ;   in Loop: Header=BB0_35 Depth=1
	s_mov_b64 s[18:19], s[2:3]
	s_mov_b32 s23, 0
	s_cbranch_execnz .LBB0_67
.LBB0_66:                               ;   in Loop: Header=BB0_35 Depth=1
	global_load_dwordx2 v[17:18], v1, s[2:3]
	s_add_i32 s23, s22, -8
.LBB0_67:                               ;   in Loop: Header=BB0_35 Depth=1
	s_add_u32 s2, s18, 8
	s_addc_u32 s3, s19, 0
	s_cmp_gt_u32 s23, 7
	s_cbranch_scc1 .LBB0_71
; %bb.68:                               ;   in Loop: Header=BB0_35 Depth=1
	s_cmp_eq_u32 s23, 0
	s_cbranch_scc1 .LBB0_72
; %bb.69:                               ;   in Loop: Header=BB0_35 Depth=1
	v_mov_b32_e32 v19, 0
	s_mov_b64 s[2:3], 0
	v_mov_b32_e32 v20, 0
	s_mov_b64 s[20:21], 0
.LBB0_70:                               ;   Parent Loop BB0_35 Depth=1
                                        ; =>  This Inner Loop Header: Depth=2
	s_add_u32 s24, s18, s20
	s_addc_u32 s25, s19, s21
	global_load_ubyte v0, v1, s[24:25]
	s_add_u32 s20, s20, 1
	s_addc_u32 s21, s21, 0
	s_waitcnt vmcnt(0)
	v_and_b32_e32 v0, 0xffff, v0
	v_lshlrev_b64 v[9:10], s2, v[0:1]
	s_add_u32 s2, s2, 8
	s_addc_u32 s3, s3, 0
	v_or_b32_e32 v19, v9, v19
	s_cmp_lg_u32 s23, s20
	v_or_b32_e32 v20, v10, v20
	s_cbranch_scc1 .LBB0_70
	s_branch .LBB0_73
.LBB0_71:                               ;   in Loop: Header=BB0_35 Depth=1
	s_mov_b32 s22, 0
	s_branch .LBB0_74
.LBB0_72:                               ;   in Loop: Header=BB0_35 Depth=1
	v_mov_b32_e32 v19, 0
	v_mov_b32_e32 v20, 0
.LBB0_73:                               ;   in Loop: Header=BB0_35 Depth=1
	s_mov_b64 s[2:3], s[18:19]
	s_mov_b32 s22, 0
	s_cbranch_execnz .LBB0_75
.LBB0_74:                               ;   in Loop: Header=BB0_35 Depth=1
	global_load_dwordx2 v[19:20], v1, s[18:19]
	s_add_i32 s22, s23, -8
.LBB0_75:                               ;   in Loop: Header=BB0_35 Depth=1
	s_add_u32 s18, s2, 8
	s_addc_u32 s19, s3, 0
	s_cmp_gt_u32 s22, 7
	s_cbranch_scc1 .LBB0_79
; %bb.76:                               ;   in Loop: Header=BB0_35 Depth=1
	s_cmp_eq_u32 s22, 0
	s_cbranch_scc1 .LBB0_80
; %bb.77:                               ;   in Loop: Header=BB0_35 Depth=1
	v_mov_b32_e32 v21, 0
	s_mov_b64 s[18:19], 0
	v_mov_b32_e32 v22, 0
	s_mov_b64 s[20:21], 0
.LBB0_78:                               ;   Parent Loop BB0_35 Depth=1
                                        ; =>  This Inner Loop Header: Depth=2
	s_add_u32 s24, s2, s20
	s_addc_u32 s25, s3, s21
	global_load_ubyte v0, v1, s[24:25]
	s_add_u32 s20, s20, 1
	s_addc_u32 s21, s21, 0
	s_waitcnt vmcnt(0)
	v_and_b32_e32 v0, 0xffff, v0
	v_lshlrev_b64 v[9:10], s18, v[0:1]
	s_add_u32 s18, s18, 8
	s_addc_u32 s19, s19, 0
	v_or_b32_e32 v21, v9, v21
	s_cmp_lg_u32 s22, s20
	v_or_b32_e32 v22, v10, v22
	s_cbranch_scc1 .LBB0_78
	s_branch .LBB0_81
.LBB0_79:                               ;   in Loop: Header=BB0_35 Depth=1
                                        ; implicit-def: $vgpr21_vgpr22
	s_mov_b32 s23, 0
	s_branch .LBB0_82
.LBB0_80:                               ;   in Loop: Header=BB0_35 Depth=1
	v_mov_b32_e32 v21, 0
	v_mov_b32_e32 v22, 0
.LBB0_81:                               ;   in Loop: Header=BB0_35 Depth=1
	s_mov_b64 s[18:19], s[2:3]
	s_mov_b32 s23, 0
	s_cbranch_execnz .LBB0_83
.LBB0_82:                               ;   in Loop: Header=BB0_35 Depth=1
	global_load_dwordx2 v[21:22], v1, s[2:3]
	s_add_i32 s23, s22, -8
.LBB0_83:                               ;   in Loop: Header=BB0_35 Depth=1
	s_cmp_gt_u32 s23, 7
	s_cbranch_scc1 .LBB0_87
; %bb.84:                               ;   in Loop: Header=BB0_35 Depth=1
	s_cmp_eq_u32 s23, 0
	s_cbranch_scc1 .LBB0_88
; %bb.85:                               ;   in Loop: Header=BB0_35 Depth=1
	v_mov_b32_e32 v23, 0
	s_mov_b64 s[2:3], 0
	v_mov_b32_e32 v24, 0
	s_mov_b64 s[20:21], s[18:19]
.LBB0_86:                               ;   Parent Loop BB0_35 Depth=1
                                        ; =>  This Inner Loop Header: Depth=2
	global_load_ubyte v0, v1, s[20:21]
	s_add_i32 s23, s23, -1
	s_waitcnt vmcnt(0)
	v_and_b32_e32 v0, 0xffff, v0
	v_lshlrev_b64 v[9:10], s2, v[0:1]
	s_add_u32 s2, s2, 8
	s_addc_u32 s3, s3, 0
	s_add_u32 s20, s20, 1
	s_addc_u32 s21, s21, 0
	v_or_b32_e32 v23, v9, v23
	s_cmp_lg_u32 s23, 0
	v_or_b32_e32 v24, v10, v24
	s_cbranch_scc1 .LBB0_86
	s_branch .LBB0_89
.LBB0_87:                               ;   in Loop: Header=BB0_35 Depth=1
	s_branch .LBB0_90
.LBB0_88:                               ;   in Loop: Header=BB0_35 Depth=1
	v_mov_b32_e32 v23, 0
	v_mov_b32_e32 v24, 0
.LBB0_89:                               ;   in Loop: Header=BB0_35 Depth=1
	s_cbranch_execnz .LBB0_91
.LBB0_90:                               ;   in Loop: Header=BB0_35 Depth=1
	global_load_dwordx2 v[23:24], v1, s[18:19]
.LBB0_91:                               ;   in Loop: Header=BB0_35 Depth=1
	v_readfirstlane_b32 s2, v32
	v_mov_b32_e32 v9, 0
	v_mov_b32_e32 v10, 0
	v_cmp_eq_u32_e64 s[2:3], s2, v32
	s_and_saveexec_b64 s[18:19], s[2:3]
	s_cbranch_execz .LBB0_97
; %bb.92:                               ;   in Loop: Header=BB0_35 Depth=1
	global_load_dwordx2 v[27:28], v1, s[10:11] offset:24 glc
	s_waitcnt vmcnt(0)
	buffer_wbinvl1_vol
	global_load_dwordx2 v[9:10], v1, s[10:11] offset:40
	global_load_dwordx2 v[25:26], v1, s[10:11]
	s_waitcnt vmcnt(1)
	v_and_b32_e32 v0, v9, v27
	v_and_b32_e32 v9, v10, v28
	v_mul_lo_u32 v9, v9, 24
	v_mul_hi_u32 v10, v0, 24
	v_mul_lo_u32 v0, v0, 24
	v_add_u32_e32 v10, v10, v9
	s_waitcnt vmcnt(0)
	v_add_co_u32_e32 v9, vcc, v25, v0
	v_addc_co_u32_e32 v10, vcc, v26, v10, vcc
	global_load_dwordx2 v[25:26], v[9:10], off glc
	s_waitcnt vmcnt(0)
	global_atomic_cmpswap_x2 v[9:10], v1, v[25:28], s[10:11] offset:24 glc
	s_waitcnt vmcnt(0)
	buffer_wbinvl1_vol
	v_cmp_ne_u64_e32 vcc, v[9:10], v[27:28]
	s_and_saveexec_b64 s[20:21], vcc
	s_cbranch_execz .LBB0_96
; %bb.93:                               ;   in Loop: Header=BB0_35 Depth=1
	s_mov_b64 s[22:23], 0
.LBB0_94:                               ;   Parent Loop BB0_35 Depth=1
                                        ; =>  This Inner Loop Header: Depth=2
	s_sleep 1
	global_load_dwordx2 v[25:26], v1, s[10:11] offset:40
	global_load_dwordx2 v[29:30], v1, s[10:11]
	v_mov_b32_e32 v28, v10
	v_mov_b32_e32 v27, v9
	s_waitcnt vmcnt(1)
	v_and_b32_e32 v0, v25, v27
	s_waitcnt vmcnt(0)
	v_mad_u64_u32 v[9:10], s[24:25], v0, 24, v[29:30]
	v_and_b32_e32 v25, v26, v28
	v_mov_b32_e32 v0, v10
	v_mad_u64_u32 v[25:26], s[24:25], v25, 24, v[0:1]
	v_mov_b32_e32 v10, v25
	global_load_dwordx2 v[25:26], v[9:10], off glc
	s_waitcnt vmcnt(0)
	global_atomic_cmpswap_x2 v[9:10], v1, v[25:28], s[10:11] offset:24 glc
	s_waitcnt vmcnt(0)
	buffer_wbinvl1_vol
	v_cmp_eq_u64_e32 vcc, v[9:10], v[27:28]
	s_or_b64 s[22:23], vcc, s[22:23]
	s_andn2_b64 exec, exec, s[22:23]
	s_cbranch_execnz .LBB0_94
; %bb.95:                               ;   in Loop: Header=BB0_35 Depth=1
	s_or_b64 exec, exec, s[22:23]
.LBB0_96:                               ;   in Loop: Header=BB0_35 Depth=1
	s_or_b64 exec, exec, s[20:21]
.LBB0_97:                               ;   in Loop: Header=BB0_35 Depth=1
	s_or_b64 exec, exec, s[18:19]
	global_load_dwordx2 v[29:30], v1, s[10:11] offset:40
	global_load_dwordx4 v[25:28], v1, s[10:11]
	v_readfirstlane_b32 s19, v10
	v_readfirstlane_b32 s18, v9
	s_mov_b64 s[20:21], exec
	s_waitcnt vmcnt(1)
	v_readfirstlane_b32 s22, v29
	v_readfirstlane_b32 s23, v30
	s_and_b64 s[22:23], s[22:23], s[18:19]
	s_mul_i32 s24, s23, 24
	s_mul_hi_u32 s25, s22, 24
	s_mul_i32 s30, s22, 24
	s_add_i32 s24, s25, s24
	v_mov_b32_e32 v0, s24
	s_waitcnt vmcnt(0)
	v_add_co_u32_e32 v29, vcc, s30, v25
	v_addc_co_u32_e32 v30, vcc, v26, v0, vcc
	s_and_saveexec_b64 s[24:25], s[2:3]
	s_cbranch_execz .LBB0_99
; %bb.98:                               ;   in Loop: Header=BB0_35 Depth=1
	v_mov_b32_e32 v9, s20
	v_mov_b32_e32 v10, s21
	global_store_dwordx4 v[29:30], v[9:12], off offset:8
.LBB0_99:                               ;   in Loop: Header=BB0_35 Depth=1
	s_or_b64 exec, exec, s[24:25]
	s_lshl_b64 s[20:21], s[22:23], 12
	v_mov_b32_e32 v0, s21
	v_add_co_u32_e32 v27, vcc, s20, v27
	v_addc_co_u32_e32 v28, vcc, v28, v0, vcc
	v_cmp_lt_u64_e64 vcc, s[14:15], 57
	s_lshl_b32 s20, s16, 2
	v_cndmask_b32_e32 v0, 0, v35, vcc
	s_add_i32 s20, s20, 28
	v_and_b32_e32 v5, 0xffffff1f, v5
	s_and_b32 s20, s20, 0x1e0
	v_or_b32_e32 v0, v5, v0
	v_or_b32_e32 v5, s20, v0
	v_readfirstlane_b32 s20, v27
	v_readfirstlane_b32 s21, v28
	s_nop 4
	global_store_dwordx4 v31, v[5:8], s[20:21]
	global_store_dwordx4 v31, v[13:16], s[20:21] offset:16
	global_store_dwordx4 v31, v[17:20], s[20:21] offset:32
	;; [unrolled: 1-line block ×3, first 2 shown]
	s_and_saveexec_b64 s[20:21], s[2:3]
	s_cbranch_execz .LBB0_107
; %bb.100:                              ;   in Loop: Header=BB0_35 Depth=1
	global_load_dwordx2 v[15:16], v1, s[10:11] offset:32 glc
	global_load_dwordx2 v[5:6], v1, s[10:11] offset:40
	v_mov_b32_e32 v13, s18
	v_mov_b32_e32 v14, s19
	s_waitcnt vmcnt(0)
	v_readfirstlane_b32 s22, v5
	v_readfirstlane_b32 s23, v6
	s_and_b64 s[22:23], s[22:23], s[18:19]
	s_mul_i32 s23, s23, 24
	s_mul_hi_u32 s24, s22, 24
	s_mul_i32 s22, s22, 24
	s_add_i32 s23, s24, s23
	v_mov_b32_e32 v0, s23
	v_add_co_u32_e32 v9, vcc, s22, v25
	v_addc_co_u32_e32 v10, vcc, v26, v0, vcc
	global_store_dwordx2 v[9:10], v[15:16], off
	s_waitcnt vmcnt(0)
	global_atomic_cmpswap_x2 v[7:8], v1, v[13:16], s[10:11] offset:32 glc
	s_waitcnt vmcnt(0)
	v_cmp_ne_u64_e32 vcc, v[7:8], v[15:16]
	s_and_saveexec_b64 s[22:23], vcc
	s_cbranch_execz .LBB0_103
; %bb.101:                              ;   in Loop: Header=BB0_35 Depth=1
	s_mov_b64 s[24:25], 0
.LBB0_102:                              ;   Parent Loop BB0_35 Depth=1
                                        ; =>  This Inner Loop Header: Depth=2
	s_sleep 1
	global_store_dwordx2 v[9:10], v[7:8], off
	v_mov_b32_e32 v5, s18
	v_mov_b32_e32 v6, s19
	s_waitcnt vmcnt(0)
	global_atomic_cmpswap_x2 v[5:6], v1, v[5:8], s[10:11] offset:32 glc
	s_waitcnt vmcnt(0)
	v_cmp_eq_u64_e32 vcc, v[5:6], v[7:8]
	v_mov_b32_e32 v8, v6
	s_or_b64 s[24:25], vcc, s[24:25]
	v_mov_b32_e32 v7, v5
	s_andn2_b64 exec, exec, s[24:25]
	s_cbranch_execnz .LBB0_102
.LBB0_103:                              ;   in Loop: Header=BB0_35 Depth=1
	s_or_b64 exec, exec, s[22:23]
	global_load_dwordx2 v[5:6], v1, s[10:11] offset:16
	s_mov_b64 s[24:25], exec
	v_mbcnt_lo_u32_b32 v0, s24, 0
	v_mbcnt_hi_u32_b32 v0, s25, v0
	v_cmp_eq_u32_e32 vcc, 0, v0
	s_and_saveexec_b64 s[22:23], vcc
	s_cbranch_execz .LBB0_105
; %bb.104:                              ;   in Loop: Header=BB0_35 Depth=1
	s_bcnt1_i32_b64 s24, s[24:25]
	v_mov_b32_e32 v0, s24
	s_waitcnt vmcnt(0)
	global_atomic_add_x2 v[5:6], v[0:1], off offset:8
.LBB0_105:                              ;   in Loop: Header=BB0_35 Depth=1
	s_or_b64 exec, exec, s[22:23]
	s_waitcnt vmcnt(0)
	global_load_dwordx2 v[7:8], v[5:6], off offset:16
	s_waitcnt vmcnt(0)
	v_cmp_eq_u64_e32 vcc, 0, v[7:8]
	s_cbranch_vccnz .LBB0_107
; %bb.106:                              ;   in Loop: Header=BB0_35 Depth=1
	global_load_dword v0, v[5:6], off offset:24
	s_waitcnt vmcnt(0)
	v_readfirstlane_b32 s22, v0
	s_and_b32 m0, s22, 0xffffff
	global_store_dwordx2 v[7:8], v[0:1], off
	s_sendmsg sendmsg(MSG_INTERRUPT)
.LBB0_107:                              ;   in Loop: Header=BB0_35 Depth=1
	s_or_b64 exec, exec, s[20:21]
	v_add_co_u32_e32 v5, vcc, v27, v31
	v_addc_co_u32_e32 v6, vcc, 0, v28, vcc
	s_branch .LBB0_111
.LBB0_108:                              ;   in Loop: Header=BB0_111 Depth=2
	s_or_b64 exec, exec, s[20:21]
	v_readfirstlane_b32 s20, v0
	s_cmp_eq_u32 s20, 0
	s_cbranch_scc1 .LBB0_110
; %bb.109:                              ;   in Loop: Header=BB0_111 Depth=2
	s_sleep 1
	s_cbranch_execnz .LBB0_111
	s_branch .LBB0_113
.LBB0_110:                              ;   in Loop: Header=BB0_35 Depth=1
	s_branch .LBB0_113
.LBB0_111:                              ;   Parent Loop BB0_35 Depth=1
                                        ; =>  This Inner Loop Header: Depth=2
	v_mov_b32_e32 v0, 1
	s_and_saveexec_b64 s[20:21], s[2:3]
	s_cbranch_execz .LBB0_108
; %bb.112:                              ;   in Loop: Header=BB0_111 Depth=2
	global_load_dword v0, v[29:30], off offset:20 glc
	s_waitcnt vmcnt(0)
	buffer_wbinvl1_vol
	v_and_b32_e32 v0, 1, v0
	s_branch .LBB0_108
.LBB0_113:                              ;   in Loop: Header=BB0_35 Depth=1
	global_load_dwordx2 v[5:6], v[5:6], off
	s_and_saveexec_b64 s[20:21], s[2:3]
	s_cbranch_execz .LBB0_34
; %bb.114:                              ;   in Loop: Header=BB0_35 Depth=1
	global_load_dwordx2 v[7:8], v1, s[10:11] offset:40
	global_load_dwordx2 v[17:18], v1, s[10:11] offset:24 glc
	global_load_dwordx2 v[9:10], v1, s[10:11]
	s_waitcnt vmcnt(2)
	v_readfirstlane_b32 s22, v7
	v_readfirstlane_b32 s23, v8
	s_add_u32 s24, s22, 1
	s_addc_u32 s25, s23, 0
	s_add_u32 s2, s24, s18
	s_addc_u32 s3, s25, s19
	s_cmp_eq_u64 s[2:3], 0
	s_cselect_b32 s3, s25, s3
	s_cselect_b32 s2, s24, s2
	s_and_b64 s[18:19], s[2:3], s[22:23]
	s_mul_i32 s19, s19, 24
	s_mul_hi_u32 s22, s18, 24
	s_mul_i32 s18, s18, 24
	s_add_i32 s19, s22, s19
	v_mov_b32_e32 v0, s19
	s_waitcnt vmcnt(0)
	v_add_co_u32_e32 v13, vcc, s18, v9
	v_addc_co_u32_e32 v14, vcc, v10, v0, vcc
	v_mov_b32_e32 v15, s2
	global_store_dwordx2 v[13:14], v[17:18], off
	v_mov_b32_e32 v16, s3
	s_waitcnt vmcnt(0)
	global_atomic_cmpswap_x2 v[9:10], v1, v[15:18], s[10:11] offset:24 glc
	s_waitcnt vmcnt(0)
	v_cmp_ne_u64_e32 vcc, v[9:10], v[17:18]
	s_and_b64 exec, exec, vcc
	s_cbranch_execz .LBB0_34
; %bb.115:                              ;   in Loop: Header=BB0_35 Depth=1
	s_mov_b64 s[18:19], 0
.LBB0_116:                              ;   Parent Loop BB0_35 Depth=1
                                        ; =>  This Inner Loop Header: Depth=2
	s_sleep 1
	global_store_dwordx2 v[13:14], v[9:10], off
	v_mov_b32_e32 v7, s2
	v_mov_b32_e32 v8, s3
	s_waitcnt vmcnt(0)
	global_atomic_cmpswap_x2 v[7:8], v1, v[7:10], s[10:11] offset:24 glc
	s_waitcnt vmcnt(0)
	v_cmp_eq_u64_e32 vcc, v[7:8], v[9:10]
	v_mov_b32_e32 v10, v8
	s_or_b64 s[18:19], vcc, s[18:19]
	v_mov_b32_e32 v9, v7
	s_andn2_b64 exec, exec, s[18:19]
	s_cbranch_execnz .LBB0_116
	s_branch .LBB0_34
.LBB0_117:
	s_branch .LBB0_145
.LBB0_118:
                                        ; implicit-def: $vgpr5_vgpr6
	s_cbranch_execz .LBB0_145
; %bb.119:
	v_readfirstlane_b32 s2, v32
	v_mov_b32_e32 v0, 0
	v_mov_b32_e32 v1, 0
	v_cmp_eq_u32_e64 s[2:3], s2, v32
	s_and_saveexec_b64 s[12:13], s[2:3]
	s_cbranch_execz .LBB0_125
; %bb.120:
	s_waitcnt vmcnt(0)
	v_mov_b32_e32 v5, 0
	global_load_dwordx2 v[8:9], v5, s[10:11] offset:24 glc
	s_waitcnt vmcnt(0)
	buffer_wbinvl1_vol
	global_load_dwordx2 v[0:1], v5, s[10:11] offset:40
	global_load_dwordx2 v[6:7], v5, s[10:11]
	s_waitcnt vmcnt(1)
	v_and_b32_e32 v0, v0, v8
	v_and_b32_e32 v1, v1, v9
	v_mul_lo_u32 v1, v1, 24
	v_mul_hi_u32 v10, v0, 24
	v_mul_lo_u32 v0, v0, 24
	v_add_u32_e32 v1, v10, v1
	s_waitcnt vmcnt(0)
	v_add_co_u32_e32 v0, vcc, v6, v0
	v_addc_co_u32_e32 v1, vcc, v7, v1, vcc
	global_load_dwordx2 v[6:7], v[0:1], off glc
	s_waitcnt vmcnt(0)
	global_atomic_cmpswap_x2 v[0:1], v5, v[6:9], s[10:11] offset:24 glc
	s_waitcnt vmcnt(0)
	buffer_wbinvl1_vol
	v_cmp_ne_u64_e32 vcc, v[0:1], v[8:9]
	s_and_saveexec_b64 s[14:15], vcc
	s_cbranch_execz .LBB0_124
; %bb.121:
	s_mov_b64 s[16:17], 0
.LBB0_122:                              ; =>This Inner Loop Header: Depth=1
	s_sleep 1
	global_load_dwordx2 v[6:7], v5, s[10:11] offset:40
	global_load_dwordx2 v[10:11], v5, s[10:11]
	v_mov_b32_e32 v9, v1
	v_mov_b32_e32 v8, v0
	s_waitcnt vmcnt(1)
	v_and_b32_e32 v0, v6, v8
	s_waitcnt vmcnt(0)
	v_mad_u64_u32 v[0:1], s[18:19], v0, 24, v[10:11]
	v_and_b32_e32 v6, v7, v9
	v_mad_u64_u32 v[6:7], s[18:19], v6, 24, v[1:2]
	v_mov_b32_e32 v1, v6
	global_load_dwordx2 v[6:7], v[0:1], off glc
	s_waitcnt vmcnt(0)
	global_atomic_cmpswap_x2 v[0:1], v5, v[6:9], s[10:11] offset:24 glc
	s_waitcnt vmcnt(0)
	buffer_wbinvl1_vol
	v_cmp_eq_u64_e32 vcc, v[0:1], v[8:9]
	s_or_b64 s[16:17], vcc, s[16:17]
	s_andn2_b64 exec, exec, s[16:17]
	s_cbranch_execnz .LBB0_122
; %bb.123:
	s_or_b64 exec, exec, s[16:17]
.LBB0_124:
	s_or_b64 exec, exec, s[14:15]
.LBB0_125:
	s_or_b64 exec, exec, s[12:13]
	s_waitcnt vmcnt(0)
	v_mov_b32_e32 v5, 0
	global_load_dwordx2 v[11:12], v5, s[10:11] offset:40
	global_load_dwordx4 v[7:10], v5, s[10:11]
	v_readfirstlane_b32 s13, v1
	v_readfirstlane_b32 s12, v0
	s_mov_b64 s[14:15], exec
	s_waitcnt vmcnt(1)
	v_readfirstlane_b32 s16, v11
	v_readfirstlane_b32 s17, v12
	s_and_b64 s[16:17], s[16:17], s[12:13]
	s_mul_i32 s18, s17, 24
	s_mul_hi_u32 s19, s16, 24
	s_mul_i32 s20, s16, 24
	s_add_i32 s18, s19, s18
	v_mov_b32_e32 v1, s18
	s_waitcnt vmcnt(0)
	v_add_co_u32_e32 v0, vcc, s20, v7
	v_addc_co_u32_e32 v1, vcc, v8, v1, vcc
	s_and_saveexec_b64 s[18:19], s[2:3]
	s_cbranch_execz .LBB0_127
; %bb.126:
	v_mov_b32_e32 v11, s14
	v_mov_b32_e32 v12, s15
	;; [unrolled: 1-line block ×4, first 2 shown]
	global_store_dwordx4 v[0:1], v[11:14], off offset:8
.LBB0_127:
	s_or_b64 exec, exec, s[18:19]
	s_lshl_b64 s[14:15], s[16:17], 12
	v_mov_b32_e32 v6, s15
	v_add_co_u32_e32 v11, vcc, s14, v9
	v_addc_co_u32_e32 v12, vcc, v10, v6, vcc
	s_movk_i32 s14, 0xff1f
	v_and_or_b32 v3, v3, s14, 32
	s_mov_b32 s16, 0
	v_mov_b32_e32 v6, v5
	v_readfirstlane_b32 s14, v11
	v_readfirstlane_b32 s15, v12
	v_add_co_u32_e32 v9, vcc, v11, v31
	s_mov_b32 s17, s16
	s_mov_b32 s18, s16
	;; [unrolled: 1-line block ×3, first 2 shown]
	s_nop 0
	global_store_dwordx4 v31, v[3:6], s[14:15]
	v_addc_co_u32_e32 v10, vcc, 0, v12, vcc
	v_mov_b32_e32 v3, s16
	v_mov_b32_e32 v4, s17
	;; [unrolled: 1-line block ×4, first 2 shown]
	global_store_dwordx4 v31, v[3:6], s[14:15] offset:16
	global_store_dwordx4 v31, v[3:6], s[14:15] offset:32
	global_store_dwordx4 v31, v[3:6], s[14:15] offset:48
	s_and_saveexec_b64 s[14:15], s[2:3]
	s_cbranch_execz .LBB0_135
; %bb.128:
	v_mov_b32_e32 v11, 0
	global_load_dwordx2 v[14:15], v11, s[10:11] offset:32 glc
	global_load_dwordx2 v[3:4], v11, s[10:11] offset:40
	v_mov_b32_e32 v12, s12
	v_mov_b32_e32 v13, s13
	s_waitcnt vmcnt(0)
	v_readfirstlane_b32 s16, v3
	v_readfirstlane_b32 s17, v4
	s_and_b64 s[16:17], s[16:17], s[12:13]
	s_mul_i32 s17, s17, 24
	s_mul_hi_u32 s18, s16, 24
	s_mul_i32 s16, s16, 24
	s_add_i32 s17, s18, s17
	v_mov_b32_e32 v3, s17
	v_add_co_u32_e32 v7, vcc, s16, v7
	v_addc_co_u32_e32 v8, vcc, v8, v3, vcc
	global_store_dwordx2 v[7:8], v[14:15], off
	s_waitcnt vmcnt(0)
	global_atomic_cmpswap_x2 v[5:6], v11, v[12:15], s[10:11] offset:32 glc
	s_waitcnt vmcnt(0)
	v_cmp_ne_u64_e32 vcc, v[5:6], v[14:15]
	s_and_saveexec_b64 s[16:17], vcc
	s_cbranch_execz .LBB0_131
; %bb.129:
	s_mov_b64 s[18:19], 0
.LBB0_130:                              ; =>This Inner Loop Header: Depth=1
	s_sleep 1
	global_store_dwordx2 v[7:8], v[5:6], off
	v_mov_b32_e32 v3, s12
	v_mov_b32_e32 v4, s13
	s_waitcnt vmcnt(0)
	global_atomic_cmpswap_x2 v[3:4], v11, v[3:6], s[10:11] offset:32 glc
	s_waitcnt vmcnt(0)
	v_cmp_eq_u64_e32 vcc, v[3:4], v[5:6]
	v_mov_b32_e32 v6, v4
	s_or_b64 s[18:19], vcc, s[18:19]
	v_mov_b32_e32 v5, v3
	s_andn2_b64 exec, exec, s[18:19]
	s_cbranch_execnz .LBB0_130
.LBB0_131:
	s_or_b64 exec, exec, s[16:17]
	v_mov_b32_e32 v6, 0
	global_load_dwordx2 v[3:4], v6, s[10:11] offset:16
	s_mov_b64 s[16:17], exec
	v_mbcnt_lo_u32_b32 v5, s16, 0
	v_mbcnt_hi_u32_b32 v5, s17, v5
	v_cmp_eq_u32_e32 vcc, 0, v5
	s_and_saveexec_b64 s[18:19], vcc
	s_cbranch_execz .LBB0_133
; %bb.132:
	s_bcnt1_i32_b64 s16, s[16:17]
	v_mov_b32_e32 v5, s16
	s_waitcnt vmcnt(0)
	global_atomic_add_x2 v[3:4], v[5:6], off offset:8
.LBB0_133:
	s_or_b64 exec, exec, s[18:19]
	s_waitcnt vmcnt(0)
	global_load_dwordx2 v[5:6], v[3:4], off offset:16
	s_waitcnt vmcnt(0)
	v_cmp_eq_u64_e32 vcc, 0, v[5:6]
	s_cbranch_vccnz .LBB0_135
; %bb.134:
	global_load_dword v3, v[3:4], off offset:24
	v_mov_b32_e32 v4, 0
	s_waitcnt vmcnt(0)
	v_readfirstlane_b32 s16, v3
	s_and_b32 m0, s16, 0xffffff
	global_store_dwordx2 v[5:6], v[3:4], off
	s_sendmsg sendmsg(MSG_INTERRUPT)
.LBB0_135:
	s_or_b64 exec, exec, s[14:15]
	s_branch .LBB0_139
.LBB0_136:                              ;   in Loop: Header=BB0_139 Depth=1
	s_or_b64 exec, exec, s[14:15]
	v_readfirstlane_b32 s14, v3
	s_cmp_eq_u32 s14, 0
	s_cbranch_scc1 .LBB0_138
; %bb.137:                              ;   in Loop: Header=BB0_139 Depth=1
	s_sleep 1
	s_cbranch_execnz .LBB0_139
	s_branch .LBB0_141
.LBB0_138:
	s_branch .LBB0_141
.LBB0_139:                              ; =>This Inner Loop Header: Depth=1
	v_mov_b32_e32 v3, 1
	s_and_saveexec_b64 s[14:15], s[2:3]
	s_cbranch_execz .LBB0_136
; %bb.140:                              ;   in Loop: Header=BB0_139 Depth=1
	global_load_dword v3, v[0:1], off offset:20 glc
	s_waitcnt vmcnt(0)
	buffer_wbinvl1_vol
	v_and_b32_e32 v3, 1, v3
	s_branch .LBB0_136
.LBB0_141:
	global_load_dwordx2 v[5:6], v[9:10], off
	s_and_saveexec_b64 s[14:15], s[2:3]
	s_cbranch_execz .LBB0_144
; %bb.142:
	v_mov_b32_e32 v3, 0
	global_load_dwordx2 v[0:1], v3, s[10:11] offset:40
	global_load_dwordx2 v[11:12], v3, s[10:11] offset:24 glc
	global_load_dwordx2 v[7:8], v3, s[10:11]
	s_waitcnt vmcnt(2)
	v_readfirstlane_b32 s16, v0
	v_readfirstlane_b32 s17, v1
	s_add_u32 s18, s16, 1
	s_addc_u32 s19, s17, 0
	s_add_u32 s2, s18, s12
	s_addc_u32 s3, s19, s13
	s_cmp_eq_u64 s[2:3], 0
	s_cselect_b32 s3, s19, s3
	s_cselect_b32 s2, s18, s2
	s_and_b64 s[12:13], s[2:3], s[16:17]
	s_mul_i32 s13, s13, 24
	s_mul_hi_u32 s16, s12, 24
	s_mul_i32 s12, s12, 24
	s_add_i32 s13, s16, s13
	v_mov_b32_e32 v1, s13
	s_waitcnt vmcnt(0)
	v_add_co_u32_e32 v0, vcc, s12, v7
	v_addc_co_u32_e32 v1, vcc, v8, v1, vcc
	v_mov_b32_e32 v9, s2
	global_store_dwordx2 v[0:1], v[11:12], off
	v_mov_b32_e32 v10, s3
	s_waitcnt vmcnt(0)
	global_atomic_cmpswap_x2 v[9:10], v3, v[9:12], s[10:11] offset:24 glc
	s_mov_b64 s[12:13], 0
	s_waitcnt vmcnt(0)
	v_cmp_ne_u64_e32 vcc, v[9:10], v[11:12]
	s_and_b64 exec, exec, vcc
	s_cbranch_execz .LBB0_144
.LBB0_143:                              ; =>This Inner Loop Header: Depth=1
	s_sleep 1
	global_store_dwordx2 v[0:1], v[9:10], off
	v_mov_b32_e32 v7, s2
	v_mov_b32_e32 v8, s3
	s_waitcnt vmcnt(0)
	global_atomic_cmpswap_x2 v[7:8], v3, v[7:10], s[10:11] offset:24 glc
	s_waitcnt vmcnt(0)
	v_cmp_eq_u64_e32 vcc, v[7:8], v[9:10]
	v_mov_b32_e32 v10, v8
	s_or_b64 s[12:13], vcc, s[12:13]
	v_mov_b32_e32 v9, v7
	s_andn2_b64 exec, exec, s[12:13]
	s_cbranch_execnz .LBB0_143
.LBB0_144:
	s_or_b64 exec, exec, s[14:15]
.LBB0_145:
	v_readfirstlane_b32 s2, v32
	v_mov_b32_e32 v0, 0
	v_mov_b32_e32 v1, 0
	v_cmp_eq_u32_e64 s[2:3], s2, v32
	s_and_saveexec_b64 s[12:13], s[2:3]
	s_cbranch_execz .LBB0_151
; %bb.146:
	s_waitcnt vmcnt(0)
	v_mov_b32_e32 v3, 0
	global_load_dwordx2 v[9:10], v3, s[10:11] offset:24 glc
	s_waitcnt vmcnt(0)
	buffer_wbinvl1_vol
	global_load_dwordx2 v[0:1], v3, s[10:11] offset:40
	global_load_dwordx2 v[7:8], v3, s[10:11]
	s_waitcnt vmcnt(1)
	v_and_b32_e32 v0, v0, v9
	v_and_b32_e32 v1, v1, v10
	v_mul_lo_u32 v1, v1, 24
	v_mul_hi_u32 v4, v0, 24
	v_mul_lo_u32 v0, v0, 24
	v_add_u32_e32 v1, v4, v1
	s_waitcnt vmcnt(0)
	v_add_co_u32_e32 v0, vcc, v7, v0
	v_addc_co_u32_e32 v1, vcc, v8, v1, vcc
	global_load_dwordx2 v[7:8], v[0:1], off glc
	s_waitcnt vmcnt(0)
	global_atomic_cmpswap_x2 v[0:1], v3, v[7:10], s[10:11] offset:24 glc
	s_waitcnt vmcnt(0)
	buffer_wbinvl1_vol
	v_cmp_ne_u64_e32 vcc, v[0:1], v[9:10]
	s_and_saveexec_b64 s[14:15], vcc
	s_cbranch_execz .LBB0_150
; %bb.147:
	s_mov_b64 s[16:17], 0
.LBB0_148:                              ; =>This Inner Loop Header: Depth=1
	s_sleep 1
	global_load_dwordx2 v[7:8], v3, s[10:11] offset:40
	global_load_dwordx2 v[11:12], v3, s[10:11]
	v_mov_b32_e32 v10, v1
	v_mov_b32_e32 v9, v0
	s_waitcnt vmcnt(1)
	v_and_b32_e32 v0, v7, v9
	s_waitcnt vmcnt(0)
	v_mad_u64_u32 v[0:1], s[18:19], v0, 24, v[11:12]
	v_and_b32_e32 v4, v8, v10
	v_mad_u64_u32 v[7:8], s[18:19], v4, 24, v[1:2]
	v_mov_b32_e32 v1, v7
	global_load_dwordx2 v[7:8], v[0:1], off glc
	s_waitcnt vmcnt(0)
	global_atomic_cmpswap_x2 v[0:1], v3, v[7:10], s[10:11] offset:24 glc
	s_waitcnt vmcnt(0)
	buffer_wbinvl1_vol
	v_cmp_eq_u64_e32 vcc, v[0:1], v[9:10]
	s_or_b64 s[16:17], vcc, s[16:17]
	s_andn2_b64 exec, exec, s[16:17]
	s_cbranch_execnz .LBB0_148
; %bb.149:
	s_or_b64 exec, exec, s[16:17]
.LBB0_150:
	s_or_b64 exec, exec, s[14:15]
.LBB0_151:
	s_or_b64 exec, exec, s[12:13]
	v_mov_b32_e32 v8, 0
	global_load_dwordx2 v[3:4], v8, s[10:11] offset:40
	global_load_dwordx4 v[9:12], v8, s[10:11]
	v_readfirstlane_b32 s13, v1
	v_readfirstlane_b32 s12, v0
	s_mov_b64 s[14:15], exec
	s_waitcnt vmcnt(1)
	v_readfirstlane_b32 s16, v3
	v_readfirstlane_b32 s17, v4
	s_and_b64 s[16:17], s[16:17], s[12:13]
	s_mul_i32 s18, s17, 24
	s_mul_hi_u32 s19, s16, 24
	s_mul_i32 s20, s16, 24
	s_add_i32 s18, s19, s18
	v_mov_b32_e32 v1, s18
	s_waitcnt vmcnt(0)
	v_add_co_u32_e32 v0, vcc, s20, v9
	v_addc_co_u32_e32 v1, vcc, v10, v1, vcc
	s_and_saveexec_b64 s[18:19], s[2:3]
	s_cbranch_execz .LBB0_153
; %bb.152:
	v_mov_b32_e32 v13, s14
	v_mov_b32_e32 v14, s15
	;; [unrolled: 1-line block ×4, first 2 shown]
	global_store_dwordx4 v[0:1], v[13:16], off offset:8
.LBB0_153:
	s_or_b64 exec, exec, s[18:19]
	s_lshl_b64 s[14:15], s[16:17], 12
	v_mov_b32_e32 v3, s15
	v_add_co_u32_e32 v4, vcc, s14, v11
	v_addc_co_u32_e32 v3, vcc, v12, v3, vcc
	s_add_i32 s14, s29, -1
	s_movk_i32 s15, 0xff1f
	s_mov_b32 s16, 0
	v_and_or_b32 v5, v5, s15, 32
	v_add_co_u32_e32 v11, vcc, v4, v31
	v_mov_b32_e32 v7, s14
	v_readfirstlane_b32 s14, v4
	v_readfirstlane_b32 s15, v3
	v_addc_co_u32_e32 v12, vcc, 0, v3, vcc
	s_mov_b32 s17, s16
	s_mov_b32 s18, s16
	;; [unrolled: 1-line block ×3, first 2 shown]
	s_nop 0
	global_store_dwordx4 v31, v[5:8], s[14:15]
	v_mov_b32_e32 v3, s16
	v_mov_b32_e32 v4, s17
	;; [unrolled: 1-line block ×4, first 2 shown]
	global_store_dwordx4 v31, v[3:6], s[14:15] offset:16
	global_store_dwordx4 v31, v[3:6], s[14:15] offset:32
	;; [unrolled: 1-line block ×3, first 2 shown]
	s_and_saveexec_b64 s[14:15], s[2:3]
	s_cbranch_execz .LBB0_161
; %bb.154:
	v_mov_b32_e32 v13, 0
	global_load_dwordx2 v[16:17], v13, s[10:11] offset:32 glc
	global_load_dwordx2 v[3:4], v13, s[10:11] offset:40
	v_mov_b32_e32 v14, s12
	v_mov_b32_e32 v15, s13
	s_waitcnt vmcnt(0)
	v_readfirstlane_b32 s16, v3
	v_readfirstlane_b32 s17, v4
	s_and_b64 s[16:17], s[16:17], s[12:13]
	s_mul_i32 s17, s17, 24
	s_mul_hi_u32 s18, s16, 24
	s_mul_i32 s16, s16, 24
	s_add_i32 s17, s18, s17
	v_mov_b32_e32 v3, s17
	v_add_co_u32_e32 v7, vcc, s16, v9
	v_addc_co_u32_e32 v8, vcc, v10, v3, vcc
	global_store_dwordx2 v[7:8], v[16:17], off
	s_waitcnt vmcnt(0)
	global_atomic_cmpswap_x2 v[5:6], v13, v[14:17], s[10:11] offset:32 glc
	s_waitcnt vmcnt(0)
	v_cmp_ne_u64_e32 vcc, v[5:6], v[16:17]
	s_and_saveexec_b64 s[16:17], vcc
	s_cbranch_execz .LBB0_157
; %bb.155:
	s_mov_b64 s[18:19], 0
.LBB0_156:                              ; =>This Inner Loop Header: Depth=1
	s_sleep 1
	global_store_dwordx2 v[7:8], v[5:6], off
	v_mov_b32_e32 v3, s12
	v_mov_b32_e32 v4, s13
	s_waitcnt vmcnt(0)
	global_atomic_cmpswap_x2 v[3:4], v13, v[3:6], s[10:11] offset:32 glc
	s_waitcnt vmcnt(0)
	v_cmp_eq_u64_e32 vcc, v[3:4], v[5:6]
	v_mov_b32_e32 v6, v4
	s_or_b64 s[18:19], vcc, s[18:19]
	v_mov_b32_e32 v5, v3
	s_andn2_b64 exec, exec, s[18:19]
	s_cbranch_execnz .LBB0_156
.LBB0_157:
	s_or_b64 exec, exec, s[16:17]
	v_mov_b32_e32 v6, 0
	global_load_dwordx2 v[3:4], v6, s[10:11] offset:16
	s_mov_b64 s[16:17], exec
	v_mbcnt_lo_u32_b32 v5, s16, 0
	v_mbcnt_hi_u32_b32 v5, s17, v5
	v_cmp_eq_u32_e32 vcc, 0, v5
	s_and_saveexec_b64 s[18:19], vcc
	s_cbranch_execz .LBB0_159
; %bb.158:
	s_bcnt1_i32_b64 s16, s[16:17]
	v_mov_b32_e32 v5, s16
	s_waitcnt vmcnt(0)
	global_atomic_add_x2 v[3:4], v[5:6], off offset:8
.LBB0_159:
	s_or_b64 exec, exec, s[18:19]
	s_waitcnt vmcnt(0)
	global_load_dwordx2 v[5:6], v[3:4], off offset:16
	s_waitcnt vmcnt(0)
	v_cmp_eq_u64_e32 vcc, 0, v[5:6]
	s_cbranch_vccnz .LBB0_161
; %bb.160:
	global_load_dword v3, v[3:4], off offset:24
	v_mov_b32_e32 v4, 0
	s_waitcnt vmcnt(0)
	v_readfirstlane_b32 s16, v3
	s_and_b32 m0, s16, 0xffffff
	global_store_dwordx2 v[5:6], v[3:4], off
	s_sendmsg sendmsg(MSG_INTERRUPT)
.LBB0_161:
	s_or_b64 exec, exec, s[14:15]
	s_branch .LBB0_165
.LBB0_162:                              ;   in Loop: Header=BB0_165 Depth=1
	s_or_b64 exec, exec, s[14:15]
	v_readfirstlane_b32 s14, v3
	s_cmp_eq_u32 s14, 0
	s_cbranch_scc1 .LBB0_164
; %bb.163:                              ;   in Loop: Header=BB0_165 Depth=1
	s_sleep 1
	s_cbranch_execnz .LBB0_165
	s_branch .LBB0_167
.LBB0_164:
	s_branch .LBB0_167
.LBB0_165:                              ; =>This Inner Loop Header: Depth=1
	v_mov_b32_e32 v3, 1
	s_and_saveexec_b64 s[14:15], s[2:3]
	s_cbranch_execz .LBB0_162
; %bb.166:                              ;   in Loop: Header=BB0_165 Depth=1
	global_load_dword v3, v[0:1], off offset:20 glc
	s_waitcnt vmcnt(0)
	buffer_wbinvl1_vol
	v_and_b32_e32 v3, 1, v3
	s_branch .LBB0_162
.LBB0_167:
	global_load_dwordx2 v[3:4], v[11:12], off
	s_and_saveexec_b64 s[14:15], s[2:3]
	s_cbranch_execz .LBB0_170
; %bb.168:
	v_mov_b32_e32 v9, 0
	global_load_dwordx2 v[0:1], v9, s[10:11] offset:40
	global_load_dwordx2 v[12:13], v9, s[10:11] offset:24 glc
	global_load_dwordx2 v[5:6], v9, s[10:11]
	s_waitcnt vmcnt(2)
	v_readfirstlane_b32 s16, v0
	v_readfirstlane_b32 s17, v1
	s_add_u32 s18, s16, 1
	s_addc_u32 s19, s17, 0
	s_add_u32 s2, s18, s12
	s_addc_u32 s3, s19, s13
	s_cmp_eq_u64 s[2:3], 0
	s_cselect_b32 s3, s19, s3
	s_cselect_b32 s2, s18, s2
	s_and_b64 s[12:13], s[2:3], s[16:17]
	s_mul_i32 s13, s13, 24
	s_mul_hi_u32 s16, s12, 24
	s_mul_i32 s12, s12, 24
	s_add_i32 s13, s16, s13
	v_mov_b32_e32 v1, s13
	s_waitcnt vmcnt(0)
	v_add_co_u32_e32 v0, vcc, s12, v5
	v_addc_co_u32_e32 v1, vcc, v6, v1, vcc
	v_mov_b32_e32 v10, s2
	global_store_dwordx2 v[0:1], v[12:13], off
	v_mov_b32_e32 v11, s3
	s_waitcnt vmcnt(0)
	global_atomic_cmpswap_x2 v[7:8], v9, v[10:13], s[10:11] offset:24 glc
	s_mov_b64 s[12:13], 0
	s_waitcnt vmcnt(0)
	v_cmp_ne_u64_e32 vcc, v[7:8], v[12:13]
	s_and_b64 exec, exec, vcc
	s_cbranch_execz .LBB0_170
.LBB0_169:                              ; =>This Inner Loop Header: Depth=1
	s_sleep 1
	global_store_dwordx2 v[0:1], v[7:8], off
	v_mov_b32_e32 v5, s2
	v_mov_b32_e32 v6, s3
	s_waitcnt vmcnt(0)
	global_atomic_cmpswap_x2 v[5:6], v9, v[5:8], s[10:11] offset:24 glc
	s_waitcnt vmcnt(0)
	v_cmp_eq_u64_e32 vcc, v[5:6], v[7:8]
	v_mov_b32_e32 v8, v6
	s_or_b64 s[12:13], vcc, s[12:13]
	v_mov_b32_e32 v7, v5
	s_andn2_b64 exec, exec, s[12:13]
	s_cbranch_execnz .LBB0_169
.LBB0_170:
	s_or_b64 exec, exec, s[14:15]
	v_readfirstlane_b32 s2, v32
	v_mov_b32_e32 v0, 0
	v_mov_b32_e32 v1, 0
	v_cmp_eq_u32_e64 s[2:3], s2, v32
	s_and_saveexec_b64 s[12:13], s[2:3]
	s_cbranch_execz .LBB0_176
; %bb.171:
	v_mov_b32_e32 v5, 0
	global_load_dwordx2 v[8:9], v5, s[10:11] offset:24 glc
	s_waitcnt vmcnt(0)
	buffer_wbinvl1_vol
	global_load_dwordx2 v[0:1], v5, s[10:11] offset:40
	global_load_dwordx2 v[6:7], v5, s[10:11]
	s_waitcnt vmcnt(1)
	v_and_b32_e32 v0, v0, v8
	v_and_b32_e32 v1, v1, v9
	v_mul_lo_u32 v1, v1, 24
	v_mul_hi_u32 v10, v0, 24
	v_mul_lo_u32 v0, v0, 24
	v_add_u32_e32 v1, v10, v1
	s_waitcnt vmcnt(0)
	v_add_co_u32_e32 v0, vcc, v6, v0
	v_addc_co_u32_e32 v1, vcc, v7, v1, vcc
	global_load_dwordx2 v[6:7], v[0:1], off glc
	s_waitcnt vmcnt(0)
	global_atomic_cmpswap_x2 v[0:1], v5, v[6:9], s[10:11] offset:24 glc
	s_waitcnt vmcnt(0)
	buffer_wbinvl1_vol
	v_cmp_ne_u64_e32 vcc, v[0:1], v[8:9]
	s_and_saveexec_b64 s[14:15], vcc
	s_cbranch_execz .LBB0_175
; %bb.172:
	s_mov_b64 s[16:17], 0
.LBB0_173:                              ; =>This Inner Loop Header: Depth=1
	s_sleep 1
	global_load_dwordx2 v[6:7], v5, s[10:11] offset:40
	global_load_dwordx2 v[10:11], v5, s[10:11]
	v_mov_b32_e32 v9, v1
	v_mov_b32_e32 v8, v0
	s_waitcnt vmcnt(1)
	v_and_b32_e32 v0, v6, v8
	s_waitcnt vmcnt(0)
	v_mad_u64_u32 v[0:1], s[18:19], v0, 24, v[10:11]
	v_and_b32_e32 v6, v7, v9
	v_mad_u64_u32 v[6:7], s[18:19], v6, 24, v[1:2]
	v_mov_b32_e32 v1, v6
	global_load_dwordx2 v[6:7], v[0:1], off glc
	s_waitcnt vmcnt(0)
	global_atomic_cmpswap_x2 v[0:1], v5, v[6:9], s[10:11] offset:24 glc
	s_waitcnt vmcnt(0)
	buffer_wbinvl1_vol
	v_cmp_eq_u64_e32 vcc, v[0:1], v[8:9]
	s_or_b64 s[16:17], vcc, s[16:17]
	s_andn2_b64 exec, exec, s[16:17]
	s_cbranch_execnz .LBB0_173
; %bb.174:
	s_or_b64 exec, exec, s[16:17]
.LBB0_175:
	s_or_b64 exec, exec, s[14:15]
.LBB0_176:
	s_or_b64 exec, exec, s[12:13]
	v_mov_b32_e32 v6, 0
	global_load_dwordx2 v[11:12], v6, s[10:11] offset:40
	global_load_dwordx4 v[7:10], v6, s[10:11]
	v_readfirstlane_b32 s13, v1
	v_readfirstlane_b32 s12, v0
	s_mov_b64 s[14:15], exec
	s_waitcnt vmcnt(1)
	v_readfirstlane_b32 s16, v11
	v_readfirstlane_b32 s17, v12
	s_and_b64 s[16:17], s[16:17], s[12:13]
	s_mul_i32 s18, s17, 24
	s_mul_hi_u32 s19, s16, 24
	s_mul_i32 s20, s16, 24
	s_add_i32 s18, s19, s18
	v_mov_b32_e32 v1, s18
	s_waitcnt vmcnt(0)
	v_add_co_u32_e32 v0, vcc, s20, v7
	v_addc_co_u32_e32 v1, vcc, v8, v1, vcc
	s_and_saveexec_b64 s[18:19], s[2:3]
	s_cbranch_execz .LBB0_178
; %bb.177:
	v_mov_b32_e32 v11, s14
	v_mov_b32_e32 v12, s15
	;; [unrolled: 1-line block ×4, first 2 shown]
	global_store_dwordx4 v[0:1], v[11:14], off offset:8
.LBB0_178:
	s_or_b64 exec, exec, s[18:19]
	s_lshl_b64 s[14:15], s[16:17], 12
	v_mov_b32_e32 v5, s15
	v_add_co_u32_e32 v9, vcc, s14, v9
	v_addc_co_u32_e32 v10, vcc, v10, v5, vcc
	v_cndmask_b32_e64 v5, -1, v33, s[0:1]
	s_movk_i32 s0, 0xff1d
	v_and_or_b32 v3, v3, s0, 34
	v_readfirstlane_b32 s0, v9
	v_readfirstlane_b32 s1, v10
	s_mov_b32 s16, 0
	s_mov_b32 s17, s16
	;; [unrolled: 1-line block ×4, first 2 shown]
	s_nop 0
	global_store_dwordx4 v31, v[3:6], s[0:1]
	s_nop 0
	v_mov_b32_e32 v3, s16
	v_mov_b32_e32 v4, s17
	;; [unrolled: 1-line block ×4, first 2 shown]
	global_store_dwordx4 v31, v[3:6], s[0:1] offset:16
	global_store_dwordx4 v31, v[3:6], s[0:1] offset:32
	global_store_dwordx4 v31, v[3:6], s[0:1] offset:48
	s_and_saveexec_b64 s[0:1], s[2:3]
	s_cbranch_execz .LBB0_186
; %bb.179:
	v_mov_b32_e32 v9, 0
	global_load_dwordx2 v[12:13], v9, s[10:11] offset:32 glc
	global_load_dwordx2 v[3:4], v9, s[10:11] offset:40
	v_mov_b32_e32 v10, s12
	v_mov_b32_e32 v11, s13
	s_waitcnt vmcnt(0)
	v_readfirstlane_b32 s14, v3
	v_readfirstlane_b32 s15, v4
	s_and_b64 s[14:15], s[14:15], s[12:13]
	s_mul_i32 s15, s15, 24
	s_mul_hi_u32 s16, s14, 24
	s_mul_i32 s14, s14, 24
	s_add_i32 s15, s16, s15
	v_mov_b32_e32 v3, s15
	v_add_co_u32_e32 v7, vcc, s14, v7
	v_addc_co_u32_e32 v8, vcc, v8, v3, vcc
	global_store_dwordx2 v[7:8], v[12:13], off
	s_waitcnt vmcnt(0)
	global_atomic_cmpswap_x2 v[5:6], v9, v[10:13], s[10:11] offset:32 glc
	s_waitcnt vmcnt(0)
	v_cmp_ne_u64_e32 vcc, v[5:6], v[12:13]
	s_and_saveexec_b64 s[14:15], vcc
	s_cbranch_execz .LBB0_182
; %bb.180:
	s_mov_b64 s[16:17], 0
.LBB0_181:                              ; =>This Inner Loop Header: Depth=1
	s_sleep 1
	global_store_dwordx2 v[7:8], v[5:6], off
	v_mov_b32_e32 v3, s12
	v_mov_b32_e32 v4, s13
	s_waitcnt vmcnt(0)
	global_atomic_cmpswap_x2 v[3:4], v9, v[3:6], s[10:11] offset:32 glc
	s_waitcnt vmcnt(0)
	v_cmp_eq_u64_e32 vcc, v[3:4], v[5:6]
	v_mov_b32_e32 v6, v4
	s_or_b64 s[16:17], vcc, s[16:17]
	v_mov_b32_e32 v5, v3
	s_andn2_b64 exec, exec, s[16:17]
	s_cbranch_execnz .LBB0_181
.LBB0_182:
	s_or_b64 exec, exec, s[14:15]
	v_mov_b32_e32 v6, 0
	global_load_dwordx2 v[3:4], v6, s[10:11] offset:16
	s_mov_b64 s[14:15], exec
	v_mbcnt_lo_u32_b32 v5, s14, 0
	v_mbcnt_hi_u32_b32 v5, s15, v5
	v_cmp_eq_u32_e32 vcc, 0, v5
	s_and_saveexec_b64 s[16:17], vcc
	s_cbranch_execz .LBB0_184
; %bb.183:
	s_bcnt1_i32_b64 s14, s[14:15]
	v_mov_b32_e32 v5, s14
	s_waitcnt vmcnt(0)
	global_atomic_add_x2 v[3:4], v[5:6], off offset:8
.LBB0_184:
	s_or_b64 exec, exec, s[16:17]
	s_waitcnt vmcnt(0)
	global_load_dwordx2 v[5:6], v[3:4], off offset:16
	s_waitcnt vmcnt(0)
	v_cmp_eq_u64_e32 vcc, 0, v[5:6]
	s_cbranch_vccnz .LBB0_186
; %bb.185:
	global_load_dword v3, v[3:4], off offset:24
	v_mov_b32_e32 v4, 0
	s_waitcnt vmcnt(0)
	v_readfirstlane_b32 s14, v3
	s_and_b32 m0, s14, 0xffffff
	global_store_dwordx2 v[5:6], v[3:4], off
	s_sendmsg sendmsg(MSG_INTERRUPT)
.LBB0_186:
	s_or_b64 exec, exec, s[0:1]
	s_branch .LBB0_190
.LBB0_187:                              ;   in Loop: Header=BB0_190 Depth=1
	s_or_b64 exec, exec, s[0:1]
	v_readfirstlane_b32 s0, v3
	s_cmp_eq_u32 s0, 0
	s_cbranch_scc1 .LBB0_189
; %bb.188:                              ;   in Loop: Header=BB0_190 Depth=1
	s_sleep 1
	s_cbranch_execnz .LBB0_190
	s_branch .LBB0_192
.LBB0_189:
	s_branch .LBB0_192
.LBB0_190:                              ; =>This Inner Loop Header: Depth=1
	v_mov_b32_e32 v3, 1
	s_and_saveexec_b64 s[0:1], s[2:3]
	s_cbranch_execz .LBB0_187
; %bb.191:                              ;   in Loop: Header=BB0_190 Depth=1
	global_load_dword v3, v[0:1], off offset:20 glc
	s_waitcnt vmcnt(0)
	buffer_wbinvl1_vol
	v_and_b32_e32 v3, 1, v3
	s_branch .LBB0_187
.LBB0_192:
	s_and_saveexec_b64 s[0:1], s[2:3]
	s_cbranch_execz .LBB0_195
; %bb.193:
	v_mov_b32_e32 v7, 0
	global_load_dwordx2 v[0:1], v7, s[10:11] offset:40
	global_load_dwordx2 v[10:11], v7, s[10:11] offset:24 glc
	global_load_dwordx2 v[3:4], v7, s[10:11]
	s_waitcnt vmcnt(2)
	v_readfirstlane_b32 s14, v0
	v_readfirstlane_b32 s15, v1
	s_add_u32 s16, s14, 1
	s_addc_u32 s17, s15, 0
	s_add_u32 s2, s16, s12
	s_addc_u32 s3, s17, s13
	s_cmp_eq_u64 s[2:3], 0
	s_cselect_b32 s3, s17, s3
	s_cselect_b32 s2, s16, s2
	s_and_b64 s[12:13], s[2:3], s[14:15]
	s_mul_i32 s13, s13, 24
	s_mul_hi_u32 s14, s12, 24
	s_mul_i32 s12, s12, 24
	s_add_i32 s13, s14, s13
	v_mov_b32_e32 v1, s13
	s_waitcnt vmcnt(0)
	v_add_co_u32_e32 v0, vcc, s12, v3
	v_addc_co_u32_e32 v1, vcc, v4, v1, vcc
	v_mov_b32_e32 v8, s2
	global_store_dwordx2 v[0:1], v[10:11], off
	v_mov_b32_e32 v9, s3
	s_waitcnt vmcnt(0)
	global_atomic_cmpswap_x2 v[5:6], v7, v[8:11], s[10:11] offset:24 glc
	s_mov_b64 s[12:13], 0
	s_waitcnt vmcnt(0)
	v_cmp_ne_u64_e32 vcc, v[5:6], v[10:11]
	s_and_b64 exec, exec, vcc
	s_cbranch_execz .LBB0_195
.LBB0_194:                              ; =>This Inner Loop Header: Depth=1
	s_sleep 1
	global_store_dwordx2 v[0:1], v[5:6], off
	v_mov_b32_e32 v3, s2
	v_mov_b32_e32 v4, s3
	s_waitcnt vmcnt(0)
	global_atomic_cmpswap_x2 v[3:4], v7, v[3:6], s[10:11] offset:24 glc
	s_waitcnt vmcnt(0)
	v_cmp_eq_u64_e32 vcc, v[3:4], v[5:6]
	v_mov_b32_e32 v6, v4
	s_or_b64 s[12:13], vcc, s[12:13]
	v_mov_b32_e32 v5, v3
	s_andn2_b64 exec, exec, s[12:13]
	s_cbranch_execnz .LBB0_194
.LBB0_195:
	s_or_b64 exec, exec, s[0:1]
	v_cvt_f32_u32_e32 v0, s26
	s_sub_i32 s0, 0, s26
	v_readfirstlane_b32 s1, v32
	v_rcp_iflag_f32_e32 v0, v0
	v_mul_f32_e32 v0, 0x4f7ffffe, v0
	v_cvt_u32_f32_e32 v3, v0
	v_mov_b32_e32 v0, 0
	v_mov_b32_e32 v1, 0
	v_readfirstlane_b32 s16, v3
	s_mul_i32 s0, s0, s16
	s_mul_hi_u32 s17, s16, s0
	v_cmp_eq_u32_e64 s[0:1], s1, v32
	s_and_saveexec_b64 s[2:3], s[0:1]
	s_cbranch_execz .LBB0_201
; %bb.196:
	v_mov_b32_e32 v3, 0
	global_load_dwordx2 v[6:7], v3, s[10:11] offset:24 glc
	s_waitcnt vmcnt(0)
	buffer_wbinvl1_vol
	global_load_dwordx2 v[0:1], v3, s[10:11] offset:40
	global_load_dwordx2 v[4:5], v3, s[10:11]
	s_waitcnt vmcnt(1)
	v_and_b32_e32 v0, v0, v6
	v_and_b32_e32 v1, v1, v7
	v_mul_lo_u32 v1, v1, 24
	v_mul_hi_u32 v8, v0, 24
	v_mul_lo_u32 v0, v0, 24
	v_add_u32_e32 v1, v8, v1
	s_waitcnt vmcnt(0)
	v_add_co_u32_e32 v0, vcc, v4, v0
	v_addc_co_u32_e32 v1, vcc, v5, v1, vcc
	global_load_dwordx2 v[4:5], v[0:1], off glc
	s_waitcnt vmcnt(0)
	global_atomic_cmpswap_x2 v[0:1], v3, v[4:7], s[10:11] offset:24 glc
	s_waitcnt vmcnt(0)
	buffer_wbinvl1_vol
	v_cmp_ne_u64_e32 vcc, v[0:1], v[6:7]
	s_and_saveexec_b64 s[12:13], vcc
	s_cbranch_execz .LBB0_200
; %bb.197:
	s_mov_b64 s[14:15], 0
.LBB0_198:                              ; =>This Inner Loop Header: Depth=1
	s_sleep 1
	global_load_dwordx2 v[4:5], v3, s[10:11] offset:40
	global_load_dwordx2 v[8:9], v3, s[10:11]
	v_mov_b32_e32 v7, v1
	v_mov_b32_e32 v6, v0
	s_waitcnt vmcnt(1)
	v_and_b32_e32 v0, v4, v6
	s_waitcnt vmcnt(0)
	v_mad_u64_u32 v[0:1], s[18:19], v0, 24, v[8:9]
	v_and_b32_e32 v4, v5, v7
	v_mad_u64_u32 v[4:5], s[18:19], v4, 24, v[1:2]
	v_mov_b32_e32 v1, v4
	global_load_dwordx2 v[4:5], v[0:1], off glc
	s_waitcnt vmcnt(0)
	global_atomic_cmpswap_x2 v[0:1], v3, v[4:7], s[10:11] offset:24 glc
	s_waitcnt vmcnt(0)
	buffer_wbinvl1_vol
	v_cmp_eq_u64_e32 vcc, v[0:1], v[6:7]
	s_or_b64 s[14:15], vcc, s[14:15]
	s_andn2_b64 exec, exec, s[14:15]
	s_cbranch_execnz .LBB0_198
; %bb.199:
	s_or_b64 exec, exec, s[14:15]
.LBB0_200:
	s_or_b64 exec, exec, s[12:13]
.LBB0_201:
	s_or_b64 exec, exec, s[2:3]
	v_mov_b32_e32 v7, 0
	global_load_dwordx2 v[8:9], v7, s[10:11] offset:40
	global_load_dwordx4 v[3:6], v7, s[10:11]
	v_readfirstlane_b32 s3, v1
	v_readfirstlane_b32 s2, v0
	s_add_i32 s18, s16, s17
	s_mov_b64 s[12:13], exec
	s_waitcnt vmcnt(1)
	v_readfirstlane_b32 s14, v8
	v_readfirstlane_b32 s15, v9
	s_and_b64 s[14:15], s[14:15], s[2:3]
	s_mul_i32 s16, s15, 24
	s_mul_hi_u32 s17, s14, 24
	s_mul_i32 s19, s14, 24
	s_add_i32 s16, s17, s16
	v_mov_b32_e32 v1, s16
	s_waitcnt vmcnt(0)
	v_add_co_u32_e32 v0, vcc, s19, v3
	v_addc_co_u32_e32 v1, vcc, v4, v1, vcc
	s_and_saveexec_b64 s[16:17], s[0:1]
	s_cbranch_execz .LBB0_203
; %bb.202:
	v_mov_b32_e32 v8, s12
	v_mov_b32_e32 v9, s13
	;; [unrolled: 1-line block ×4, first 2 shown]
	global_store_dwordx4 v[0:1], v[8:11], off offset:8
.LBB0_203:
	s_or_b64 exec, exec, s[16:17]
	s_lshl_b64 s[12:13], s[14:15], 12
	v_mov_b32_e32 v8, s13
	v_add_co_u32_e32 v5, vcc, s12, v5
	v_addc_co_u32_e32 v12, vcc, v6, v8, vcc
	s_mov_b32 s12, 0
	v_mov_b32_e32 v6, 33
	v_mov_b32_e32 v8, v7
	;; [unrolled: 1-line block ×3, first 2 shown]
	v_readfirstlane_b32 s16, v5
	v_readfirstlane_b32 s17, v12
	v_add_co_u32_e32 v10, vcc, v5, v31
	s_mov_b32 s13, s12
	s_mov_b32 s14, s12
	;; [unrolled: 1-line block ×3, first 2 shown]
	s_nop 0
	global_store_dwordx4 v31, v[6:9], s[16:17]
	v_mov_b32_e32 v5, s12
	s_mul_hi_u32 s24, s29, s18
	v_addc_co_u32_e32 v11, vcc, 0, v12, vcc
	v_mov_b32_e32 v6, s13
	v_mov_b32_e32 v7, s14
	;; [unrolled: 1-line block ×3, first 2 shown]
	global_store_dwordx4 v31, v[5:8], s[16:17] offset:16
	global_store_dwordx4 v31, v[5:8], s[16:17] offset:32
	global_store_dwordx4 v31, v[5:8], s[16:17] offset:48
	s_and_saveexec_b64 s[12:13], s[0:1]
	s_cbranch_execz .LBB0_211
; %bb.204:
	v_mov_b32_e32 v9, 0
	global_load_dwordx2 v[14:15], v9, s[10:11] offset:32 glc
	global_load_dwordx2 v[5:6], v9, s[10:11] offset:40
	v_mov_b32_e32 v12, s2
	v_mov_b32_e32 v13, s3
	s_waitcnt vmcnt(0)
	v_readfirstlane_b32 s14, v5
	v_readfirstlane_b32 s15, v6
	s_and_b64 s[14:15], s[14:15], s[2:3]
	s_mul_i32 s15, s15, 24
	s_mul_hi_u32 s16, s14, 24
	s_mul_i32 s14, s14, 24
	s_add_i32 s15, s16, s15
	v_mov_b32_e32 v5, s15
	v_add_co_u32_e32 v7, vcc, s14, v3
	v_addc_co_u32_e32 v8, vcc, v4, v5, vcc
	global_store_dwordx2 v[7:8], v[14:15], off
	s_waitcnt vmcnt(0)
	global_atomic_cmpswap_x2 v[5:6], v9, v[12:15], s[10:11] offset:32 glc
	s_waitcnt vmcnt(0)
	v_cmp_ne_u64_e32 vcc, v[5:6], v[14:15]
	s_and_saveexec_b64 s[14:15], vcc
	s_cbranch_execz .LBB0_207
; %bb.205:
	s_mov_b64 s[16:17], 0
.LBB0_206:                              ; =>This Inner Loop Header: Depth=1
	s_sleep 1
	global_store_dwordx2 v[7:8], v[5:6], off
	v_mov_b32_e32 v3, s2
	v_mov_b32_e32 v4, s3
	s_waitcnt vmcnt(0)
	global_atomic_cmpswap_x2 v[3:4], v9, v[3:6], s[10:11] offset:32 glc
	s_waitcnt vmcnt(0)
	v_cmp_eq_u64_e32 vcc, v[3:4], v[5:6]
	v_mov_b32_e32 v6, v4
	s_or_b64 s[16:17], vcc, s[16:17]
	v_mov_b32_e32 v5, v3
	s_andn2_b64 exec, exec, s[16:17]
	s_cbranch_execnz .LBB0_206
.LBB0_207:
	s_or_b64 exec, exec, s[14:15]
	v_mov_b32_e32 v6, 0
	global_load_dwordx2 v[3:4], v6, s[10:11] offset:16
	s_mov_b64 s[14:15], exec
	v_mbcnt_lo_u32_b32 v5, s14, 0
	v_mbcnt_hi_u32_b32 v5, s15, v5
	v_cmp_eq_u32_e32 vcc, 0, v5
	s_and_saveexec_b64 s[16:17], vcc
	s_cbranch_execz .LBB0_209
; %bb.208:
	s_bcnt1_i32_b64 s14, s[14:15]
	v_mov_b32_e32 v5, s14
	s_waitcnt vmcnt(0)
	global_atomic_add_x2 v[3:4], v[5:6], off offset:8
.LBB0_209:
	s_or_b64 exec, exec, s[16:17]
	s_waitcnt vmcnt(0)
	global_load_dwordx2 v[5:6], v[3:4], off offset:16
	s_waitcnt vmcnt(0)
	v_cmp_eq_u64_e32 vcc, 0, v[5:6]
	s_cbranch_vccnz .LBB0_211
; %bb.210:
	global_load_dword v3, v[3:4], off offset:24
	v_mov_b32_e32 v4, 0
	s_waitcnt vmcnt(0)
	v_readfirstlane_b32 s14, v3
	s_and_b32 m0, s14, 0xffffff
	global_store_dwordx2 v[5:6], v[3:4], off
	s_sendmsg sendmsg(MSG_INTERRUPT)
.LBB0_211:
	s_or_b64 exec, exec, s[12:13]
	s_branch .LBB0_215
.LBB0_212:                              ;   in Loop: Header=BB0_215 Depth=1
	s_or_b64 exec, exec, s[12:13]
	v_readfirstlane_b32 s12, v3
	s_cmp_eq_u32 s12, 0
	s_cbranch_scc1 .LBB0_214
; %bb.213:                              ;   in Loop: Header=BB0_215 Depth=1
	s_sleep 1
	s_cbranch_execnz .LBB0_215
	s_branch .LBB0_217
.LBB0_214:
	s_branch .LBB0_217
.LBB0_215:                              ; =>This Inner Loop Header: Depth=1
	v_mov_b32_e32 v3, 1
	s_and_saveexec_b64 s[12:13], s[0:1]
	s_cbranch_execz .LBB0_212
; %bb.216:                              ;   in Loop: Header=BB0_215 Depth=1
	global_load_dword v3, v[0:1], off offset:20 glc
	s_waitcnt vmcnt(0)
	buffer_wbinvl1_vol
	v_and_b32_e32 v3, 1, v3
	s_branch .LBB0_212
.LBB0_217:
	global_load_dwordx2 v[3:4], v[10:11], off
	s_and_saveexec_b64 s[12:13], s[0:1]
	s_cbranch_execz .LBB0_220
; %bb.218:
	v_mov_b32_e32 v9, 0
	global_load_dwordx2 v[0:1], v9, s[10:11] offset:40
	global_load_dwordx2 v[12:13], v9, s[10:11] offset:24 glc
	global_load_dwordx2 v[5:6], v9, s[10:11]
	s_waitcnt vmcnt(2)
	v_readfirstlane_b32 s14, v0
	v_readfirstlane_b32 s15, v1
	s_add_u32 s16, s14, 1
	s_addc_u32 s17, s15, 0
	s_add_u32 s0, s16, s2
	s_addc_u32 s1, s17, s3
	s_cmp_eq_u64 s[0:1], 0
	s_cselect_b32 s1, s17, s1
	s_cselect_b32 s0, s16, s0
	s_and_b64 s[2:3], s[0:1], s[14:15]
	s_mul_i32 s3, s3, 24
	s_mul_hi_u32 s14, s2, 24
	s_mul_i32 s2, s2, 24
	s_add_i32 s3, s14, s3
	v_mov_b32_e32 v1, s3
	s_waitcnt vmcnt(0)
	v_add_co_u32_e32 v0, vcc, s2, v5
	v_addc_co_u32_e32 v1, vcc, v6, v1, vcc
	v_mov_b32_e32 v10, s0
	global_store_dwordx2 v[0:1], v[12:13], off
	v_mov_b32_e32 v11, s1
	s_waitcnt vmcnt(0)
	global_atomic_cmpswap_x2 v[7:8], v9, v[10:13], s[10:11] offset:24 glc
	s_mov_b64 s[2:3], 0
	s_waitcnt vmcnt(0)
	v_cmp_ne_u64_e32 vcc, v[7:8], v[12:13]
	s_and_b64 exec, exec, vcc
	s_cbranch_execz .LBB0_220
.LBB0_219:                              ; =>This Inner Loop Header: Depth=1
	s_sleep 1
	global_store_dwordx2 v[0:1], v[7:8], off
	v_mov_b32_e32 v5, s0
	v_mov_b32_e32 v6, s1
	s_waitcnt vmcnt(0)
	global_atomic_cmpswap_x2 v[5:6], v9, v[5:8], s[10:11] offset:24 glc
	s_waitcnt vmcnt(0)
	v_cmp_eq_u64_e32 vcc, v[5:6], v[7:8]
	v_mov_b32_e32 v8, v6
	s_or_b64 s[2:3], vcc, s[2:3]
	v_mov_b32_e32 v7, v5
	s_andn2_b64 exec, exec, s[2:3]
	s_cbranch_execnz .LBB0_219
.LBB0_220:
	s_or_b64 exec, exec, s[12:13]
	s_getpc_b64 s[2:3]
	s_add_u32 s2, s2, .str.1@rel32@lo+4
	s_addc_u32 s3, s3, .str.1@rel32@hi+12
	s_cmp_lg_u64 s[2:3], 0
	s_cbranch_scc0 .LBB0_306
; %bb.221:
	s_waitcnt vmcnt(0)
	v_and_b32_e32 v33, 2, v3
	v_mov_b32_e32 v1, 0
	v_and_b32_e32 v5, -3, v3
	v_mov_b32_e32 v6, v4
	s_mov_b64 s[12:13], 48
	v_mov_b32_e32 v11, 2
	v_mov_b32_e32 v12, 1
	s_branch .LBB0_223
.LBB0_222:                              ;   in Loop: Header=BB0_223 Depth=1
	s_or_b64 exec, exec, s[18:19]
	s_sub_u32 s12, s12, s14
	s_subb_u32 s13, s13, s15
	s_add_u32 s2, s2, s14
	s_addc_u32 s3, s3, s15
	s_cmp_lg_u64 s[12:13], 0
	s_cbranch_scc0 .LBB0_305
.LBB0_223:                              ; =>This Loop Header: Depth=1
                                        ;     Child Loop BB0_226 Depth 2
                                        ;     Child Loop BB0_234 Depth 2
	;; [unrolled: 1-line block ×11, first 2 shown]
	v_cmp_lt_u64_e64 s[0:1], s[12:13], 56
	v_cmp_gt_u64_e64 s[16:17], s[12:13], 7
	s_and_b64 s[0:1], s[0:1], exec
	s_cselect_b32 s15, s13, 0
	s_cselect_b32 s14, s12, 56
	s_add_u32 s0, s2, 8
	s_addc_u32 s1, s3, 0
	s_and_b64 vcc, exec, s[16:17]
	s_cbranch_vccnz .LBB0_227
; %bb.224:                              ;   in Loop: Header=BB0_223 Depth=1
	s_cmp_eq_u64 s[12:13], 0
	s_cbranch_scc1 .LBB0_228
; %bb.225:                              ;   in Loop: Header=BB0_223 Depth=1
	v_mov_b32_e32 v7, 0
	s_lshl_b64 s[0:1], s[14:15], 3
	s_mov_b64 s[16:17], 0
	v_mov_b32_e32 v8, 0
	s_mov_b64 s[18:19], s[2:3]
.LBB0_226:                              ;   Parent Loop BB0_223 Depth=1
                                        ; =>  This Inner Loop Header: Depth=2
	global_load_ubyte v0, v1, s[18:19]
	s_waitcnt vmcnt(0)
	v_and_b32_e32 v0, 0xffff, v0
	v_lshlrev_b64 v[9:10], s16, v[0:1]
	s_add_u32 s16, s16, 8
	s_addc_u32 s17, s17, 0
	s_add_u32 s18, s18, 1
	s_addc_u32 s19, s19, 0
	v_or_b32_e32 v7, v9, v7
	s_cmp_lg_u32 s0, s16
	v_or_b32_e32 v8, v10, v8
	s_cbranch_scc1 .LBB0_226
	s_branch .LBB0_229
.LBB0_227:                              ;   in Loop: Header=BB0_223 Depth=1
	s_mov_b32 s20, 0
	s_branch .LBB0_230
.LBB0_228:                              ;   in Loop: Header=BB0_223 Depth=1
	v_mov_b32_e32 v7, 0
	v_mov_b32_e32 v8, 0
.LBB0_229:                              ;   in Loop: Header=BB0_223 Depth=1
	s_mov_b64 s[0:1], s[2:3]
	s_mov_b32 s20, 0
	s_cbranch_execnz .LBB0_231
.LBB0_230:                              ;   in Loop: Header=BB0_223 Depth=1
	global_load_dwordx2 v[7:8], v1, s[2:3]
	s_add_i32 s20, s14, -8
.LBB0_231:                              ;   in Loop: Header=BB0_223 Depth=1
	s_add_u32 s16, s0, 8
	s_addc_u32 s17, s1, 0
	s_cmp_gt_u32 s20, 7
	s_cbranch_scc1 .LBB0_235
; %bb.232:                              ;   in Loop: Header=BB0_223 Depth=1
	s_cmp_eq_u32 s20, 0
	s_cbranch_scc1 .LBB0_236
; %bb.233:                              ;   in Loop: Header=BB0_223 Depth=1
	v_mov_b32_e32 v13, 0
	s_mov_b64 s[16:17], 0
	v_mov_b32_e32 v14, 0
	s_mov_b64 s[18:19], 0
.LBB0_234:                              ;   Parent Loop BB0_223 Depth=1
                                        ; =>  This Inner Loop Header: Depth=2
	s_add_u32 s22, s0, s18
	s_addc_u32 s23, s1, s19
	global_load_ubyte v0, v1, s[22:23]
	s_add_u32 s18, s18, 1
	s_addc_u32 s19, s19, 0
	s_waitcnt vmcnt(0)
	v_and_b32_e32 v0, 0xffff, v0
	v_lshlrev_b64 v[9:10], s16, v[0:1]
	s_add_u32 s16, s16, 8
	s_addc_u32 s17, s17, 0
	v_or_b32_e32 v13, v9, v13
	s_cmp_lg_u32 s20, s18
	v_or_b32_e32 v14, v10, v14
	s_cbranch_scc1 .LBB0_234
	s_branch .LBB0_237
.LBB0_235:                              ;   in Loop: Header=BB0_223 Depth=1
                                        ; implicit-def: $vgpr13_vgpr14
	s_mov_b32 s21, 0
	s_branch .LBB0_238
.LBB0_236:                              ;   in Loop: Header=BB0_223 Depth=1
	v_mov_b32_e32 v13, 0
	v_mov_b32_e32 v14, 0
.LBB0_237:                              ;   in Loop: Header=BB0_223 Depth=1
	s_mov_b64 s[16:17], s[0:1]
	s_mov_b32 s21, 0
	s_cbranch_execnz .LBB0_239
.LBB0_238:                              ;   in Loop: Header=BB0_223 Depth=1
	global_load_dwordx2 v[13:14], v1, s[0:1]
	s_add_i32 s21, s20, -8
.LBB0_239:                              ;   in Loop: Header=BB0_223 Depth=1
	s_add_u32 s0, s16, 8
	s_addc_u32 s1, s17, 0
	s_cmp_gt_u32 s21, 7
	s_cbranch_scc1 .LBB0_243
; %bb.240:                              ;   in Loop: Header=BB0_223 Depth=1
	s_cmp_eq_u32 s21, 0
	s_cbranch_scc1 .LBB0_244
; %bb.241:                              ;   in Loop: Header=BB0_223 Depth=1
	v_mov_b32_e32 v15, 0
	s_mov_b64 s[0:1], 0
	v_mov_b32_e32 v16, 0
	s_mov_b64 s[18:19], 0
.LBB0_242:                              ;   Parent Loop BB0_223 Depth=1
                                        ; =>  This Inner Loop Header: Depth=2
	s_add_u32 s22, s16, s18
	s_addc_u32 s23, s17, s19
	global_load_ubyte v0, v1, s[22:23]
	s_add_u32 s18, s18, 1
	s_addc_u32 s19, s19, 0
	s_waitcnt vmcnt(0)
	v_and_b32_e32 v0, 0xffff, v0
	v_lshlrev_b64 v[9:10], s0, v[0:1]
	s_add_u32 s0, s0, 8
	s_addc_u32 s1, s1, 0
	v_or_b32_e32 v15, v9, v15
	s_cmp_lg_u32 s21, s18
	v_or_b32_e32 v16, v10, v16
	s_cbranch_scc1 .LBB0_242
	s_branch .LBB0_245
.LBB0_243:                              ;   in Loop: Header=BB0_223 Depth=1
	s_mov_b32 s20, 0
	s_branch .LBB0_246
.LBB0_244:                              ;   in Loop: Header=BB0_223 Depth=1
	v_mov_b32_e32 v15, 0
	v_mov_b32_e32 v16, 0
.LBB0_245:                              ;   in Loop: Header=BB0_223 Depth=1
	s_mov_b64 s[0:1], s[16:17]
	s_mov_b32 s20, 0
	s_cbranch_execnz .LBB0_247
.LBB0_246:                              ;   in Loop: Header=BB0_223 Depth=1
	global_load_dwordx2 v[15:16], v1, s[16:17]
	s_add_i32 s20, s21, -8
.LBB0_247:                              ;   in Loop: Header=BB0_223 Depth=1
	s_add_u32 s16, s0, 8
	s_addc_u32 s17, s1, 0
	s_cmp_gt_u32 s20, 7
	s_cbranch_scc1 .LBB0_251
; %bb.248:                              ;   in Loop: Header=BB0_223 Depth=1
	s_cmp_eq_u32 s20, 0
	s_cbranch_scc1 .LBB0_252
; %bb.249:                              ;   in Loop: Header=BB0_223 Depth=1
	v_mov_b32_e32 v17, 0
	s_mov_b64 s[16:17], 0
	v_mov_b32_e32 v18, 0
	s_mov_b64 s[18:19], 0
.LBB0_250:                              ;   Parent Loop BB0_223 Depth=1
                                        ; =>  This Inner Loop Header: Depth=2
	s_add_u32 s22, s0, s18
	s_addc_u32 s23, s1, s19
	global_load_ubyte v0, v1, s[22:23]
	s_add_u32 s18, s18, 1
	s_addc_u32 s19, s19, 0
	s_waitcnt vmcnt(0)
	v_and_b32_e32 v0, 0xffff, v0
	v_lshlrev_b64 v[9:10], s16, v[0:1]
	s_add_u32 s16, s16, 8
	s_addc_u32 s17, s17, 0
	v_or_b32_e32 v17, v9, v17
	s_cmp_lg_u32 s20, s18
	v_or_b32_e32 v18, v10, v18
	s_cbranch_scc1 .LBB0_250
	s_branch .LBB0_253
.LBB0_251:                              ;   in Loop: Header=BB0_223 Depth=1
                                        ; implicit-def: $vgpr17_vgpr18
	s_mov_b32 s21, 0
	s_branch .LBB0_254
.LBB0_252:                              ;   in Loop: Header=BB0_223 Depth=1
	v_mov_b32_e32 v17, 0
	v_mov_b32_e32 v18, 0
.LBB0_253:                              ;   in Loop: Header=BB0_223 Depth=1
	s_mov_b64 s[16:17], s[0:1]
	s_mov_b32 s21, 0
	s_cbranch_execnz .LBB0_255
.LBB0_254:                              ;   in Loop: Header=BB0_223 Depth=1
	global_load_dwordx2 v[17:18], v1, s[0:1]
	s_add_i32 s21, s20, -8
.LBB0_255:                              ;   in Loop: Header=BB0_223 Depth=1
	s_add_u32 s0, s16, 8
	s_addc_u32 s1, s17, 0
	s_cmp_gt_u32 s21, 7
	s_cbranch_scc1 .LBB0_259
; %bb.256:                              ;   in Loop: Header=BB0_223 Depth=1
	s_cmp_eq_u32 s21, 0
	s_cbranch_scc1 .LBB0_260
; %bb.257:                              ;   in Loop: Header=BB0_223 Depth=1
	v_mov_b32_e32 v19, 0
	s_mov_b64 s[0:1], 0
	v_mov_b32_e32 v20, 0
	s_mov_b64 s[18:19], 0
.LBB0_258:                              ;   Parent Loop BB0_223 Depth=1
                                        ; =>  This Inner Loop Header: Depth=2
	s_add_u32 s22, s16, s18
	s_addc_u32 s23, s17, s19
	global_load_ubyte v0, v1, s[22:23]
	s_add_u32 s18, s18, 1
	s_addc_u32 s19, s19, 0
	s_waitcnt vmcnt(0)
	v_and_b32_e32 v0, 0xffff, v0
	v_lshlrev_b64 v[9:10], s0, v[0:1]
	s_add_u32 s0, s0, 8
	s_addc_u32 s1, s1, 0
	v_or_b32_e32 v19, v9, v19
	s_cmp_lg_u32 s21, s18
	v_or_b32_e32 v20, v10, v20
	s_cbranch_scc1 .LBB0_258
	s_branch .LBB0_261
.LBB0_259:                              ;   in Loop: Header=BB0_223 Depth=1
	s_mov_b32 s20, 0
	s_branch .LBB0_262
.LBB0_260:                              ;   in Loop: Header=BB0_223 Depth=1
	v_mov_b32_e32 v19, 0
	v_mov_b32_e32 v20, 0
.LBB0_261:                              ;   in Loop: Header=BB0_223 Depth=1
	s_mov_b64 s[0:1], s[16:17]
	s_mov_b32 s20, 0
	s_cbranch_execnz .LBB0_263
.LBB0_262:                              ;   in Loop: Header=BB0_223 Depth=1
	global_load_dwordx2 v[19:20], v1, s[16:17]
	s_add_i32 s20, s21, -8
.LBB0_263:                              ;   in Loop: Header=BB0_223 Depth=1
	s_add_u32 s16, s0, 8
	s_addc_u32 s17, s1, 0
	s_cmp_gt_u32 s20, 7
	s_cbranch_scc1 .LBB0_267
; %bb.264:                              ;   in Loop: Header=BB0_223 Depth=1
	s_cmp_eq_u32 s20, 0
	s_cbranch_scc1 .LBB0_268
; %bb.265:                              ;   in Loop: Header=BB0_223 Depth=1
	v_mov_b32_e32 v21, 0
	s_mov_b64 s[16:17], 0
	v_mov_b32_e32 v22, 0
	s_mov_b64 s[18:19], 0
.LBB0_266:                              ;   Parent Loop BB0_223 Depth=1
                                        ; =>  This Inner Loop Header: Depth=2
	s_add_u32 s22, s0, s18
	s_addc_u32 s23, s1, s19
	global_load_ubyte v0, v1, s[22:23]
	s_add_u32 s18, s18, 1
	s_addc_u32 s19, s19, 0
	s_waitcnt vmcnt(0)
	v_and_b32_e32 v0, 0xffff, v0
	v_lshlrev_b64 v[9:10], s16, v[0:1]
	s_add_u32 s16, s16, 8
	s_addc_u32 s17, s17, 0
	v_or_b32_e32 v21, v9, v21
	s_cmp_lg_u32 s20, s18
	v_or_b32_e32 v22, v10, v22
	s_cbranch_scc1 .LBB0_266
	s_branch .LBB0_269
.LBB0_267:                              ;   in Loop: Header=BB0_223 Depth=1
                                        ; implicit-def: $vgpr21_vgpr22
	s_mov_b32 s21, 0
	s_branch .LBB0_270
.LBB0_268:                              ;   in Loop: Header=BB0_223 Depth=1
	v_mov_b32_e32 v21, 0
	v_mov_b32_e32 v22, 0
.LBB0_269:                              ;   in Loop: Header=BB0_223 Depth=1
	s_mov_b64 s[16:17], s[0:1]
	s_mov_b32 s21, 0
	s_cbranch_execnz .LBB0_271
.LBB0_270:                              ;   in Loop: Header=BB0_223 Depth=1
	global_load_dwordx2 v[21:22], v1, s[0:1]
	s_add_i32 s21, s20, -8
.LBB0_271:                              ;   in Loop: Header=BB0_223 Depth=1
	s_cmp_gt_u32 s21, 7
	s_cbranch_scc1 .LBB0_275
; %bb.272:                              ;   in Loop: Header=BB0_223 Depth=1
	s_cmp_eq_u32 s21, 0
	s_cbranch_scc1 .LBB0_276
; %bb.273:                              ;   in Loop: Header=BB0_223 Depth=1
	v_mov_b32_e32 v23, 0
	s_mov_b64 s[0:1], 0
	v_mov_b32_e32 v24, 0
	s_mov_b64 s[18:19], s[16:17]
.LBB0_274:                              ;   Parent Loop BB0_223 Depth=1
                                        ; =>  This Inner Loop Header: Depth=2
	global_load_ubyte v0, v1, s[18:19]
	s_add_i32 s21, s21, -1
	s_waitcnt vmcnt(0)
	v_and_b32_e32 v0, 0xffff, v0
	v_lshlrev_b64 v[9:10], s0, v[0:1]
	s_add_u32 s0, s0, 8
	s_addc_u32 s1, s1, 0
	s_add_u32 s18, s18, 1
	s_addc_u32 s19, s19, 0
	v_or_b32_e32 v23, v9, v23
	s_cmp_lg_u32 s21, 0
	v_or_b32_e32 v24, v10, v24
	s_cbranch_scc1 .LBB0_274
	s_branch .LBB0_277
.LBB0_275:                              ;   in Loop: Header=BB0_223 Depth=1
	s_branch .LBB0_278
.LBB0_276:                              ;   in Loop: Header=BB0_223 Depth=1
	v_mov_b32_e32 v23, 0
	v_mov_b32_e32 v24, 0
.LBB0_277:                              ;   in Loop: Header=BB0_223 Depth=1
	s_cbranch_execnz .LBB0_279
.LBB0_278:                              ;   in Loop: Header=BB0_223 Depth=1
	global_load_dwordx2 v[23:24], v1, s[16:17]
.LBB0_279:                              ;   in Loop: Header=BB0_223 Depth=1
	v_readfirstlane_b32 s0, v32
	v_mov_b32_e32 v9, 0
	v_mov_b32_e32 v10, 0
	v_cmp_eq_u32_e64 s[0:1], s0, v32
	s_and_saveexec_b64 s[16:17], s[0:1]
	s_cbranch_execz .LBB0_285
; %bb.280:                              ;   in Loop: Header=BB0_223 Depth=1
	global_load_dwordx2 v[27:28], v1, s[10:11] offset:24 glc
	s_waitcnt vmcnt(0)
	buffer_wbinvl1_vol
	global_load_dwordx2 v[9:10], v1, s[10:11] offset:40
	global_load_dwordx2 v[25:26], v1, s[10:11]
	s_waitcnt vmcnt(1)
	v_and_b32_e32 v0, v9, v27
	v_and_b32_e32 v9, v10, v28
	v_mul_lo_u32 v9, v9, 24
	v_mul_hi_u32 v10, v0, 24
	v_mul_lo_u32 v0, v0, 24
	v_add_u32_e32 v10, v10, v9
	s_waitcnt vmcnt(0)
	v_add_co_u32_e32 v9, vcc, v25, v0
	v_addc_co_u32_e32 v10, vcc, v26, v10, vcc
	global_load_dwordx2 v[25:26], v[9:10], off glc
	s_waitcnt vmcnt(0)
	global_atomic_cmpswap_x2 v[9:10], v1, v[25:28], s[10:11] offset:24 glc
	s_waitcnt vmcnt(0)
	buffer_wbinvl1_vol
	v_cmp_ne_u64_e32 vcc, v[9:10], v[27:28]
	s_and_saveexec_b64 s[18:19], vcc
	s_cbranch_execz .LBB0_284
; %bb.281:                              ;   in Loop: Header=BB0_223 Depth=1
	s_mov_b64 s[20:21], 0
.LBB0_282:                              ;   Parent Loop BB0_223 Depth=1
                                        ; =>  This Inner Loop Header: Depth=2
	s_sleep 1
	global_load_dwordx2 v[25:26], v1, s[10:11] offset:40
	global_load_dwordx2 v[29:30], v1, s[10:11]
	v_mov_b32_e32 v28, v10
	v_mov_b32_e32 v27, v9
	s_waitcnt vmcnt(1)
	v_and_b32_e32 v0, v25, v27
	s_waitcnt vmcnt(0)
	v_mad_u64_u32 v[9:10], s[22:23], v0, 24, v[29:30]
	v_and_b32_e32 v25, v26, v28
	v_mov_b32_e32 v0, v10
	v_mad_u64_u32 v[25:26], s[22:23], v25, 24, v[0:1]
	v_mov_b32_e32 v10, v25
	global_load_dwordx2 v[25:26], v[9:10], off glc
	s_waitcnt vmcnt(0)
	global_atomic_cmpswap_x2 v[9:10], v1, v[25:28], s[10:11] offset:24 glc
	s_waitcnt vmcnt(0)
	buffer_wbinvl1_vol
	v_cmp_eq_u64_e32 vcc, v[9:10], v[27:28]
	s_or_b64 s[20:21], vcc, s[20:21]
	s_andn2_b64 exec, exec, s[20:21]
	s_cbranch_execnz .LBB0_282
; %bb.283:                              ;   in Loop: Header=BB0_223 Depth=1
	s_or_b64 exec, exec, s[20:21]
.LBB0_284:                              ;   in Loop: Header=BB0_223 Depth=1
	s_or_b64 exec, exec, s[18:19]
.LBB0_285:                              ;   in Loop: Header=BB0_223 Depth=1
	s_or_b64 exec, exec, s[16:17]
	global_load_dwordx2 v[29:30], v1, s[10:11] offset:40
	global_load_dwordx4 v[25:28], v1, s[10:11]
	v_readfirstlane_b32 s17, v10
	v_readfirstlane_b32 s16, v9
	s_mov_b64 s[18:19], exec
	s_waitcnt vmcnt(1)
	v_readfirstlane_b32 s20, v29
	v_readfirstlane_b32 s21, v30
	s_and_b64 s[20:21], s[20:21], s[16:17]
	s_mul_i32 s22, s21, 24
	s_mul_hi_u32 s23, s20, 24
	s_mul_i32 s25, s20, 24
	s_add_i32 s22, s23, s22
	v_mov_b32_e32 v0, s22
	s_waitcnt vmcnt(0)
	v_add_co_u32_e32 v29, vcc, s25, v25
	v_addc_co_u32_e32 v30, vcc, v26, v0, vcc
	s_and_saveexec_b64 s[22:23], s[0:1]
	s_cbranch_execz .LBB0_287
; %bb.286:                              ;   in Loop: Header=BB0_223 Depth=1
	v_mov_b32_e32 v9, s18
	v_mov_b32_e32 v10, s19
	global_store_dwordx4 v[29:30], v[9:12], off offset:8
.LBB0_287:                              ;   in Loop: Header=BB0_223 Depth=1
	s_or_b64 exec, exec, s[22:23]
	s_lshl_b64 s[18:19], s[20:21], 12
	v_mov_b32_e32 v0, s19
	v_add_co_u32_e32 v27, vcc, s18, v27
	v_addc_co_u32_e32 v28, vcc, v28, v0, vcc
	v_cmp_lt_u64_e64 vcc, s[12:13], 57
	s_lshl_b32 s18, s14, 2
	v_cndmask_b32_e32 v0, 0, v33, vcc
	s_add_i32 s18, s18, 28
	v_and_b32_e32 v5, 0xffffff1f, v5
	s_and_b32 s18, s18, 0x1e0
	v_or_b32_e32 v0, v5, v0
	v_or_b32_e32 v5, s18, v0
	v_readfirstlane_b32 s18, v27
	v_readfirstlane_b32 s19, v28
	s_nop 4
	global_store_dwordx4 v31, v[5:8], s[18:19]
	global_store_dwordx4 v31, v[13:16], s[18:19] offset:16
	global_store_dwordx4 v31, v[17:20], s[18:19] offset:32
	;; [unrolled: 1-line block ×3, first 2 shown]
	s_and_saveexec_b64 s[18:19], s[0:1]
	s_cbranch_execz .LBB0_295
; %bb.288:                              ;   in Loop: Header=BB0_223 Depth=1
	global_load_dwordx2 v[15:16], v1, s[10:11] offset:32 glc
	global_load_dwordx2 v[5:6], v1, s[10:11] offset:40
	v_mov_b32_e32 v13, s16
	v_mov_b32_e32 v14, s17
	s_waitcnt vmcnt(0)
	v_readfirstlane_b32 s20, v5
	v_readfirstlane_b32 s21, v6
	s_and_b64 s[20:21], s[20:21], s[16:17]
	s_mul_i32 s21, s21, 24
	s_mul_hi_u32 s22, s20, 24
	s_mul_i32 s20, s20, 24
	s_add_i32 s21, s22, s21
	v_mov_b32_e32 v0, s21
	v_add_co_u32_e32 v9, vcc, s20, v25
	v_addc_co_u32_e32 v10, vcc, v26, v0, vcc
	global_store_dwordx2 v[9:10], v[15:16], off
	s_waitcnt vmcnt(0)
	global_atomic_cmpswap_x2 v[7:8], v1, v[13:16], s[10:11] offset:32 glc
	s_waitcnt vmcnt(0)
	v_cmp_ne_u64_e32 vcc, v[7:8], v[15:16]
	s_and_saveexec_b64 s[20:21], vcc
	s_cbranch_execz .LBB0_291
; %bb.289:                              ;   in Loop: Header=BB0_223 Depth=1
	s_mov_b64 s[22:23], 0
.LBB0_290:                              ;   Parent Loop BB0_223 Depth=1
                                        ; =>  This Inner Loop Header: Depth=2
	s_sleep 1
	global_store_dwordx2 v[9:10], v[7:8], off
	v_mov_b32_e32 v5, s16
	v_mov_b32_e32 v6, s17
	s_waitcnt vmcnt(0)
	global_atomic_cmpswap_x2 v[5:6], v1, v[5:8], s[10:11] offset:32 glc
	s_waitcnt vmcnt(0)
	v_cmp_eq_u64_e32 vcc, v[5:6], v[7:8]
	v_mov_b32_e32 v8, v6
	s_or_b64 s[22:23], vcc, s[22:23]
	v_mov_b32_e32 v7, v5
	s_andn2_b64 exec, exec, s[22:23]
	s_cbranch_execnz .LBB0_290
.LBB0_291:                              ;   in Loop: Header=BB0_223 Depth=1
	s_or_b64 exec, exec, s[20:21]
	global_load_dwordx2 v[5:6], v1, s[10:11] offset:16
	s_mov_b64 s[22:23], exec
	v_mbcnt_lo_u32_b32 v0, s22, 0
	v_mbcnt_hi_u32_b32 v0, s23, v0
	v_cmp_eq_u32_e32 vcc, 0, v0
	s_and_saveexec_b64 s[20:21], vcc
	s_cbranch_execz .LBB0_293
; %bb.292:                              ;   in Loop: Header=BB0_223 Depth=1
	s_bcnt1_i32_b64 s22, s[22:23]
	v_mov_b32_e32 v0, s22
	s_waitcnt vmcnt(0)
	global_atomic_add_x2 v[5:6], v[0:1], off offset:8
.LBB0_293:                              ;   in Loop: Header=BB0_223 Depth=1
	s_or_b64 exec, exec, s[20:21]
	s_waitcnt vmcnt(0)
	global_load_dwordx2 v[7:8], v[5:6], off offset:16
	s_waitcnt vmcnt(0)
	v_cmp_eq_u64_e32 vcc, 0, v[7:8]
	s_cbranch_vccnz .LBB0_295
; %bb.294:                              ;   in Loop: Header=BB0_223 Depth=1
	global_load_dword v0, v[5:6], off offset:24
	s_waitcnt vmcnt(0)
	v_readfirstlane_b32 s20, v0
	s_and_b32 m0, s20, 0xffffff
	global_store_dwordx2 v[7:8], v[0:1], off
	s_sendmsg sendmsg(MSG_INTERRUPT)
.LBB0_295:                              ;   in Loop: Header=BB0_223 Depth=1
	s_or_b64 exec, exec, s[18:19]
	v_add_co_u32_e32 v5, vcc, v27, v31
	v_addc_co_u32_e32 v6, vcc, 0, v28, vcc
	s_branch .LBB0_299
.LBB0_296:                              ;   in Loop: Header=BB0_299 Depth=2
	s_or_b64 exec, exec, s[18:19]
	v_readfirstlane_b32 s18, v0
	s_cmp_eq_u32 s18, 0
	s_cbranch_scc1 .LBB0_298
; %bb.297:                              ;   in Loop: Header=BB0_299 Depth=2
	s_sleep 1
	s_cbranch_execnz .LBB0_299
	s_branch .LBB0_301
.LBB0_298:                              ;   in Loop: Header=BB0_223 Depth=1
	s_branch .LBB0_301
.LBB0_299:                              ;   Parent Loop BB0_223 Depth=1
                                        ; =>  This Inner Loop Header: Depth=2
	v_mov_b32_e32 v0, 1
	s_and_saveexec_b64 s[18:19], s[0:1]
	s_cbranch_execz .LBB0_296
; %bb.300:                              ;   in Loop: Header=BB0_299 Depth=2
	global_load_dword v0, v[29:30], off offset:20 glc
	s_waitcnt vmcnt(0)
	buffer_wbinvl1_vol
	v_and_b32_e32 v0, 1, v0
	s_branch .LBB0_296
.LBB0_301:                              ;   in Loop: Header=BB0_223 Depth=1
	global_load_dwordx2 v[5:6], v[5:6], off
	s_and_saveexec_b64 s[18:19], s[0:1]
	s_cbranch_execz .LBB0_222
; %bb.302:                              ;   in Loop: Header=BB0_223 Depth=1
	global_load_dwordx2 v[7:8], v1, s[10:11] offset:40
	global_load_dwordx2 v[17:18], v1, s[10:11] offset:24 glc
	global_load_dwordx2 v[9:10], v1, s[10:11]
	s_waitcnt vmcnt(2)
	v_readfirstlane_b32 s20, v7
	v_readfirstlane_b32 s21, v8
	s_add_u32 s22, s20, 1
	s_addc_u32 s23, s21, 0
	s_add_u32 s0, s22, s16
	s_addc_u32 s1, s23, s17
	s_cmp_eq_u64 s[0:1], 0
	s_cselect_b32 s1, s23, s1
	s_cselect_b32 s0, s22, s0
	s_and_b64 s[16:17], s[0:1], s[20:21]
	s_mul_i32 s17, s17, 24
	s_mul_hi_u32 s20, s16, 24
	s_mul_i32 s16, s16, 24
	s_add_i32 s17, s20, s17
	v_mov_b32_e32 v0, s17
	s_waitcnt vmcnt(0)
	v_add_co_u32_e32 v13, vcc, s16, v9
	v_addc_co_u32_e32 v14, vcc, v10, v0, vcc
	v_mov_b32_e32 v15, s0
	global_store_dwordx2 v[13:14], v[17:18], off
	v_mov_b32_e32 v16, s1
	s_waitcnt vmcnt(0)
	global_atomic_cmpswap_x2 v[9:10], v1, v[15:18], s[10:11] offset:24 glc
	s_waitcnt vmcnt(0)
	v_cmp_ne_u64_e32 vcc, v[9:10], v[17:18]
	s_and_b64 exec, exec, vcc
	s_cbranch_execz .LBB0_222
; %bb.303:                              ;   in Loop: Header=BB0_223 Depth=1
	s_mov_b64 s[16:17], 0
.LBB0_304:                              ;   Parent Loop BB0_223 Depth=1
                                        ; =>  This Inner Loop Header: Depth=2
	s_sleep 1
	global_store_dwordx2 v[13:14], v[9:10], off
	v_mov_b32_e32 v7, s0
	v_mov_b32_e32 v8, s1
	s_waitcnt vmcnt(0)
	global_atomic_cmpswap_x2 v[7:8], v1, v[7:10], s[10:11] offset:24 glc
	s_waitcnt vmcnt(0)
	v_cmp_eq_u64_e32 vcc, v[7:8], v[9:10]
	v_mov_b32_e32 v10, v8
	s_or_b64 s[16:17], vcc, s[16:17]
	v_mov_b32_e32 v9, v7
	s_andn2_b64 exec, exec, s[16:17]
	s_cbranch_execnz .LBB0_304
	s_branch .LBB0_222
.LBB0_305:
	s_branch .LBB0_333
.LBB0_306:
                                        ; implicit-def: $vgpr5_vgpr6
	s_cbranch_execz .LBB0_333
; %bb.307:
	v_readfirstlane_b32 s0, v32
	v_mov_b32_e32 v0, 0
	v_mov_b32_e32 v1, 0
	v_cmp_eq_u32_e64 s[0:1], s0, v32
	s_and_saveexec_b64 s[2:3], s[0:1]
	s_cbranch_execz .LBB0_313
; %bb.308:
	s_waitcnt vmcnt(0)
	v_mov_b32_e32 v5, 0
	global_load_dwordx2 v[8:9], v5, s[10:11] offset:24 glc
	s_waitcnt vmcnt(0)
	buffer_wbinvl1_vol
	global_load_dwordx2 v[0:1], v5, s[10:11] offset:40
	global_load_dwordx2 v[6:7], v5, s[10:11]
	s_waitcnt vmcnt(1)
	v_and_b32_e32 v0, v0, v8
	v_and_b32_e32 v1, v1, v9
	v_mul_lo_u32 v1, v1, 24
	v_mul_hi_u32 v10, v0, 24
	v_mul_lo_u32 v0, v0, 24
	v_add_u32_e32 v1, v10, v1
	s_waitcnt vmcnt(0)
	v_add_co_u32_e32 v0, vcc, v6, v0
	v_addc_co_u32_e32 v1, vcc, v7, v1, vcc
	global_load_dwordx2 v[6:7], v[0:1], off glc
	s_waitcnt vmcnt(0)
	global_atomic_cmpswap_x2 v[0:1], v5, v[6:9], s[10:11] offset:24 glc
	s_waitcnt vmcnt(0)
	buffer_wbinvl1_vol
	v_cmp_ne_u64_e32 vcc, v[0:1], v[8:9]
	s_and_saveexec_b64 s[12:13], vcc
	s_cbranch_execz .LBB0_312
; %bb.309:
	s_mov_b64 s[14:15], 0
.LBB0_310:                              ; =>This Inner Loop Header: Depth=1
	s_sleep 1
	global_load_dwordx2 v[6:7], v5, s[10:11] offset:40
	global_load_dwordx2 v[10:11], v5, s[10:11]
	v_mov_b32_e32 v9, v1
	v_mov_b32_e32 v8, v0
	s_waitcnt vmcnt(1)
	v_and_b32_e32 v0, v6, v8
	s_waitcnt vmcnt(0)
	v_mad_u64_u32 v[0:1], s[16:17], v0, 24, v[10:11]
	v_and_b32_e32 v6, v7, v9
	v_mad_u64_u32 v[6:7], s[16:17], v6, 24, v[1:2]
	v_mov_b32_e32 v1, v6
	global_load_dwordx2 v[6:7], v[0:1], off glc
	s_waitcnt vmcnt(0)
	global_atomic_cmpswap_x2 v[0:1], v5, v[6:9], s[10:11] offset:24 glc
	s_waitcnt vmcnt(0)
	buffer_wbinvl1_vol
	v_cmp_eq_u64_e32 vcc, v[0:1], v[8:9]
	s_or_b64 s[14:15], vcc, s[14:15]
	s_andn2_b64 exec, exec, s[14:15]
	s_cbranch_execnz .LBB0_310
; %bb.311:
	s_or_b64 exec, exec, s[14:15]
.LBB0_312:
	s_or_b64 exec, exec, s[12:13]
.LBB0_313:
	s_or_b64 exec, exec, s[2:3]
	s_waitcnt vmcnt(0)
	v_mov_b32_e32 v5, 0
	global_load_dwordx2 v[11:12], v5, s[10:11] offset:40
	global_load_dwordx4 v[7:10], v5, s[10:11]
	v_readfirstlane_b32 s3, v1
	v_readfirstlane_b32 s2, v0
	s_mov_b64 s[12:13], exec
	s_waitcnt vmcnt(1)
	v_readfirstlane_b32 s14, v11
	v_readfirstlane_b32 s15, v12
	s_and_b64 s[14:15], s[14:15], s[2:3]
	s_mul_i32 s16, s15, 24
	s_mul_hi_u32 s17, s14, 24
	s_mul_i32 s18, s14, 24
	s_add_i32 s16, s17, s16
	v_mov_b32_e32 v1, s16
	s_waitcnt vmcnt(0)
	v_add_co_u32_e32 v0, vcc, s18, v7
	v_addc_co_u32_e32 v1, vcc, v8, v1, vcc
	s_and_saveexec_b64 s[16:17], s[0:1]
	s_cbranch_execz .LBB0_315
; %bb.314:
	v_mov_b32_e32 v11, s12
	v_mov_b32_e32 v12, s13
	;; [unrolled: 1-line block ×4, first 2 shown]
	global_store_dwordx4 v[0:1], v[11:14], off offset:8
.LBB0_315:
	s_or_b64 exec, exec, s[16:17]
	s_lshl_b64 s[12:13], s[14:15], 12
	v_mov_b32_e32 v6, s13
	v_add_co_u32_e32 v11, vcc, s12, v9
	v_addc_co_u32_e32 v12, vcc, v10, v6, vcc
	s_movk_i32 s12, 0xff1f
	v_and_or_b32 v3, v3, s12, 32
	s_mov_b32 s12, 0
	v_mov_b32_e32 v6, v5
	v_readfirstlane_b32 s16, v11
	v_readfirstlane_b32 s17, v12
	v_add_co_u32_e32 v9, vcc, v11, v31
	s_mov_b32 s13, s12
	s_mov_b32 s14, s12
	;; [unrolled: 1-line block ×3, first 2 shown]
	s_nop 0
	global_store_dwordx4 v31, v[3:6], s[16:17]
	v_addc_co_u32_e32 v10, vcc, 0, v12, vcc
	v_mov_b32_e32 v3, s12
	v_mov_b32_e32 v4, s13
	;; [unrolled: 1-line block ×4, first 2 shown]
	global_store_dwordx4 v31, v[3:6], s[16:17] offset:16
	global_store_dwordx4 v31, v[3:6], s[16:17] offset:32
	;; [unrolled: 1-line block ×3, first 2 shown]
	s_and_saveexec_b64 s[12:13], s[0:1]
	s_cbranch_execz .LBB0_323
; %bb.316:
	v_mov_b32_e32 v11, 0
	global_load_dwordx2 v[14:15], v11, s[10:11] offset:32 glc
	global_load_dwordx2 v[3:4], v11, s[10:11] offset:40
	v_mov_b32_e32 v12, s2
	v_mov_b32_e32 v13, s3
	s_waitcnt vmcnt(0)
	v_readfirstlane_b32 s14, v3
	v_readfirstlane_b32 s15, v4
	s_and_b64 s[14:15], s[14:15], s[2:3]
	s_mul_i32 s15, s15, 24
	s_mul_hi_u32 s16, s14, 24
	s_mul_i32 s14, s14, 24
	s_add_i32 s15, s16, s15
	v_mov_b32_e32 v3, s15
	v_add_co_u32_e32 v7, vcc, s14, v7
	v_addc_co_u32_e32 v8, vcc, v8, v3, vcc
	global_store_dwordx2 v[7:8], v[14:15], off
	s_waitcnt vmcnt(0)
	global_atomic_cmpswap_x2 v[5:6], v11, v[12:15], s[10:11] offset:32 glc
	s_waitcnt vmcnt(0)
	v_cmp_ne_u64_e32 vcc, v[5:6], v[14:15]
	s_and_saveexec_b64 s[14:15], vcc
	s_cbranch_execz .LBB0_319
; %bb.317:
	s_mov_b64 s[16:17], 0
.LBB0_318:                              ; =>This Inner Loop Header: Depth=1
	s_sleep 1
	global_store_dwordx2 v[7:8], v[5:6], off
	v_mov_b32_e32 v3, s2
	v_mov_b32_e32 v4, s3
	s_waitcnt vmcnt(0)
	global_atomic_cmpswap_x2 v[3:4], v11, v[3:6], s[10:11] offset:32 glc
	s_waitcnt vmcnt(0)
	v_cmp_eq_u64_e32 vcc, v[3:4], v[5:6]
	v_mov_b32_e32 v6, v4
	s_or_b64 s[16:17], vcc, s[16:17]
	v_mov_b32_e32 v5, v3
	s_andn2_b64 exec, exec, s[16:17]
	s_cbranch_execnz .LBB0_318
.LBB0_319:
	s_or_b64 exec, exec, s[14:15]
	v_mov_b32_e32 v6, 0
	global_load_dwordx2 v[3:4], v6, s[10:11] offset:16
	s_mov_b64 s[14:15], exec
	v_mbcnt_lo_u32_b32 v5, s14, 0
	v_mbcnt_hi_u32_b32 v5, s15, v5
	v_cmp_eq_u32_e32 vcc, 0, v5
	s_and_saveexec_b64 s[16:17], vcc
	s_cbranch_execz .LBB0_321
; %bb.320:
	s_bcnt1_i32_b64 s14, s[14:15]
	v_mov_b32_e32 v5, s14
	s_waitcnt vmcnt(0)
	global_atomic_add_x2 v[3:4], v[5:6], off offset:8
.LBB0_321:
	s_or_b64 exec, exec, s[16:17]
	s_waitcnt vmcnt(0)
	global_load_dwordx2 v[5:6], v[3:4], off offset:16
	s_waitcnt vmcnt(0)
	v_cmp_eq_u64_e32 vcc, 0, v[5:6]
	s_cbranch_vccnz .LBB0_323
; %bb.322:
	global_load_dword v3, v[3:4], off offset:24
	v_mov_b32_e32 v4, 0
	s_waitcnt vmcnt(0)
	v_readfirstlane_b32 s14, v3
	s_and_b32 m0, s14, 0xffffff
	global_store_dwordx2 v[5:6], v[3:4], off
	s_sendmsg sendmsg(MSG_INTERRUPT)
.LBB0_323:
	s_or_b64 exec, exec, s[12:13]
	s_branch .LBB0_327
.LBB0_324:                              ;   in Loop: Header=BB0_327 Depth=1
	s_or_b64 exec, exec, s[12:13]
	v_readfirstlane_b32 s12, v3
	s_cmp_eq_u32 s12, 0
	s_cbranch_scc1 .LBB0_326
; %bb.325:                              ;   in Loop: Header=BB0_327 Depth=1
	s_sleep 1
	s_cbranch_execnz .LBB0_327
	s_branch .LBB0_329
.LBB0_326:
	s_branch .LBB0_329
.LBB0_327:                              ; =>This Inner Loop Header: Depth=1
	v_mov_b32_e32 v3, 1
	s_and_saveexec_b64 s[12:13], s[0:1]
	s_cbranch_execz .LBB0_324
; %bb.328:                              ;   in Loop: Header=BB0_327 Depth=1
	global_load_dword v3, v[0:1], off offset:20 glc
	s_waitcnt vmcnt(0)
	buffer_wbinvl1_vol
	v_and_b32_e32 v3, 1, v3
	s_branch .LBB0_324
.LBB0_329:
	global_load_dwordx2 v[5:6], v[9:10], off
	s_and_saveexec_b64 s[12:13], s[0:1]
	s_cbranch_execz .LBB0_332
; %bb.330:
	v_mov_b32_e32 v3, 0
	global_load_dwordx2 v[0:1], v3, s[10:11] offset:40
	global_load_dwordx2 v[11:12], v3, s[10:11] offset:24 glc
	global_load_dwordx2 v[7:8], v3, s[10:11]
	s_waitcnt vmcnt(2)
	v_readfirstlane_b32 s14, v0
	v_readfirstlane_b32 s15, v1
	s_add_u32 s16, s14, 1
	s_addc_u32 s17, s15, 0
	s_add_u32 s0, s16, s2
	s_addc_u32 s1, s17, s3
	s_cmp_eq_u64 s[0:1], 0
	s_cselect_b32 s1, s17, s1
	s_cselect_b32 s0, s16, s0
	s_and_b64 s[2:3], s[0:1], s[14:15]
	s_mul_i32 s3, s3, 24
	s_mul_hi_u32 s14, s2, 24
	s_mul_i32 s2, s2, 24
	s_add_i32 s3, s14, s3
	v_mov_b32_e32 v1, s3
	s_waitcnt vmcnt(0)
	v_add_co_u32_e32 v0, vcc, s2, v7
	v_addc_co_u32_e32 v1, vcc, v8, v1, vcc
	v_mov_b32_e32 v9, s0
	global_store_dwordx2 v[0:1], v[11:12], off
	v_mov_b32_e32 v10, s1
	s_waitcnt vmcnt(0)
	global_atomic_cmpswap_x2 v[9:10], v3, v[9:12], s[10:11] offset:24 glc
	s_mov_b64 s[2:3], 0
	s_waitcnt vmcnt(0)
	v_cmp_ne_u64_e32 vcc, v[9:10], v[11:12]
	s_and_b64 exec, exec, vcc
	s_cbranch_execz .LBB0_332
.LBB0_331:                              ; =>This Inner Loop Header: Depth=1
	s_sleep 1
	global_store_dwordx2 v[0:1], v[9:10], off
	v_mov_b32_e32 v7, s0
	v_mov_b32_e32 v8, s1
	s_waitcnt vmcnt(0)
	global_atomic_cmpswap_x2 v[7:8], v3, v[7:10], s[10:11] offset:24 glc
	s_waitcnt vmcnt(0)
	v_cmp_eq_u64_e32 vcc, v[7:8], v[9:10]
	v_mov_b32_e32 v10, v8
	s_or_b64 s[2:3], vcc, s[2:3]
	v_mov_b32_e32 v9, v7
	s_andn2_b64 exec, exec, s[2:3]
	s_cbranch_execnz .LBB0_331
.LBB0_332:
	s_or_b64 exec, exec, s[12:13]
.LBB0_333:
	v_readfirstlane_b32 s0, v32
	v_mov_b32_e32 v0, 0
	v_mov_b32_e32 v1, 0
	v_cmp_eq_u32_e64 s[0:1], s0, v32
	s_and_saveexec_b64 s[2:3], s[0:1]
	s_cbranch_execz .LBB0_339
; %bb.334:
	s_waitcnt vmcnt(0)
	v_mov_b32_e32 v3, 0
	global_load_dwordx2 v[9:10], v3, s[10:11] offset:24 glc
	s_waitcnt vmcnt(0)
	buffer_wbinvl1_vol
	global_load_dwordx2 v[0:1], v3, s[10:11] offset:40
	global_load_dwordx2 v[7:8], v3, s[10:11]
	s_waitcnt vmcnt(1)
	v_and_b32_e32 v0, v0, v9
	v_and_b32_e32 v1, v1, v10
	v_mul_lo_u32 v1, v1, 24
	v_mul_hi_u32 v4, v0, 24
	v_mul_lo_u32 v0, v0, 24
	v_add_u32_e32 v1, v4, v1
	s_waitcnt vmcnt(0)
	v_add_co_u32_e32 v0, vcc, v7, v0
	v_addc_co_u32_e32 v1, vcc, v8, v1, vcc
	global_load_dwordx2 v[7:8], v[0:1], off glc
	s_waitcnt vmcnt(0)
	global_atomic_cmpswap_x2 v[0:1], v3, v[7:10], s[10:11] offset:24 glc
	s_waitcnt vmcnt(0)
	buffer_wbinvl1_vol
	v_cmp_ne_u64_e32 vcc, v[0:1], v[9:10]
	s_and_saveexec_b64 s[12:13], vcc
	s_cbranch_execz .LBB0_338
; %bb.335:
	s_mov_b64 s[14:15], 0
.LBB0_336:                              ; =>This Inner Loop Header: Depth=1
	s_sleep 1
	global_load_dwordx2 v[7:8], v3, s[10:11] offset:40
	global_load_dwordx2 v[11:12], v3, s[10:11]
	v_mov_b32_e32 v10, v1
	v_mov_b32_e32 v9, v0
	s_waitcnt vmcnt(1)
	v_and_b32_e32 v0, v7, v9
	s_waitcnt vmcnt(0)
	v_mad_u64_u32 v[0:1], s[16:17], v0, 24, v[11:12]
	v_and_b32_e32 v4, v8, v10
	v_mad_u64_u32 v[7:8], s[16:17], v4, 24, v[1:2]
	v_mov_b32_e32 v1, v7
	global_load_dwordx2 v[7:8], v[0:1], off glc
	s_waitcnt vmcnt(0)
	global_atomic_cmpswap_x2 v[0:1], v3, v[7:10], s[10:11] offset:24 glc
	s_waitcnt vmcnt(0)
	buffer_wbinvl1_vol
	v_cmp_eq_u64_e32 vcc, v[0:1], v[9:10]
	s_or_b64 s[14:15], vcc, s[14:15]
	s_andn2_b64 exec, exec, s[14:15]
	s_cbranch_execnz .LBB0_336
; %bb.337:
	s_or_b64 exec, exec, s[14:15]
.LBB0_338:
	s_or_b64 exec, exec, s[12:13]
.LBB0_339:
	s_or_b64 exec, exec, s[2:3]
	v_mov_b32_e32 v8, 0
	global_load_dwordx2 v[3:4], v8, s[10:11] offset:40
	global_load_dwordx4 v[9:12], v8, s[10:11]
	v_readfirstlane_b32 s3, v1
	v_readfirstlane_b32 s2, v0
	s_mov_b64 s[12:13], exec
	s_waitcnt vmcnt(1)
	v_readfirstlane_b32 s14, v3
	v_readfirstlane_b32 s15, v4
	s_and_b64 s[14:15], s[14:15], s[2:3]
	s_mul_i32 s16, s15, 24
	s_mul_hi_u32 s17, s14, 24
	s_mul_i32 s18, s14, 24
	s_add_i32 s16, s17, s16
	v_mov_b32_e32 v1, s16
	s_waitcnt vmcnt(0)
	v_add_co_u32_e32 v0, vcc, s18, v9
	v_addc_co_u32_e32 v1, vcc, v10, v1, vcc
	s_and_saveexec_b64 s[16:17], s[0:1]
	s_cbranch_execz .LBB0_341
; %bb.340:
	v_mov_b32_e32 v14, s13
	v_mov_b32_e32 v13, s12
	v_mov_b32_e32 v15, 2
	v_mov_b32_e32 v16, 1
	global_store_dwordx4 v[0:1], v[13:16], off offset:8
.LBB0_341:
	s_or_b64 exec, exec, s[16:17]
	s_lshl_b64 s[12:13], s[14:15], 12
	v_add_co_u32_e32 v4, vcc, s12, v11
	s_mul_i32 s12, s24, s26
	s_sub_i32 s12, s29, s12
	v_mov_b32_e32 v3, s13
	s_add_i32 s13, s24, 1
	s_sub_i32 s14, s12, s26
	s_cmp_ge_u32 s12, s26
	s_cselect_b32 s13, s13, s24
	s_cselect_b32 s12, s14, s12
	s_add_i32 s14, s13, 1
	s_cmp_ge_u32 s12, s26
	v_addc_co_u32_e32 v3, vcc, v12, v3, vcc
	s_cselect_b32 s13, s14, s13
	s_movk_i32 s14, 0xff1f
	s_mov_b32 s12, 0
	v_and_or_b32 v5, v5, s14, 32
	v_add_co_u32_e32 v11, vcc, v4, v31
	v_mov_b32_e32 v7, s13
	v_readfirstlane_b32 s16, v4
	v_readfirstlane_b32 s17, v3
	v_addc_co_u32_e32 v12, vcc, 0, v3, vcc
	s_mov_b32 s13, s12
	s_mov_b32 s14, s12
	;; [unrolled: 1-line block ×3, first 2 shown]
	s_nop 0
	global_store_dwordx4 v31, v[5:8], s[16:17]
	v_mov_b32_e32 v3, s12
	v_mov_b32_e32 v4, s13
	;; [unrolled: 1-line block ×4, first 2 shown]
	global_store_dwordx4 v31, v[3:6], s[16:17] offset:16
	global_store_dwordx4 v31, v[3:6], s[16:17] offset:32
	;; [unrolled: 1-line block ×3, first 2 shown]
	s_and_saveexec_b64 s[12:13], s[0:1]
	s_cbranch_execz .LBB0_349
; %bb.342:
	v_mov_b32_e32 v13, 0
	global_load_dwordx2 v[16:17], v13, s[10:11] offset:32 glc
	global_load_dwordx2 v[3:4], v13, s[10:11] offset:40
	v_mov_b32_e32 v14, s2
	v_mov_b32_e32 v15, s3
	s_waitcnt vmcnt(0)
	v_readfirstlane_b32 s14, v3
	v_readfirstlane_b32 s15, v4
	s_and_b64 s[14:15], s[14:15], s[2:3]
	s_mul_i32 s15, s15, 24
	s_mul_hi_u32 s16, s14, 24
	s_mul_i32 s14, s14, 24
	s_add_i32 s15, s16, s15
	v_mov_b32_e32 v3, s15
	v_add_co_u32_e32 v7, vcc, s14, v9
	v_addc_co_u32_e32 v8, vcc, v10, v3, vcc
	global_store_dwordx2 v[7:8], v[16:17], off
	s_waitcnt vmcnt(0)
	global_atomic_cmpswap_x2 v[5:6], v13, v[14:17], s[10:11] offset:32 glc
	s_waitcnt vmcnt(0)
	v_cmp_ne_u64_e32 vcc, v[5:6], v[16:17]
	s_and_saveexec_b64 s[14:15], vcc
	s_cbranch_execz .LBB0_345
; %bb.343:
	s_mov_b64 s[16:17], 0
.LBB0_344:                              ; =>This Inner Loop Header: Depth=1
	s_sleep 1
	global_store_dwordx2 v[7:8], v[5:6], off
	v_mov_b32_e32 v3, s2
	v_mov_b32_e32 v4, s3
	s_waitcnt vmcnt(0)
	global_atomic_cmpswap_x2 v[3:4], v13, v[3:6], s[10:11] offset:32 glc
	s_waitcnt vmcnt(0)
	v_cmp_eq_u64_e32 vcc, v[3:4], v[5:6]
	v_mov_b32_e32 v6, v4
	s_or_b64 s[16:17], vcc, s[16:17]
	v_mov_b32_e32 v5, v3
	s_andn2_b64 exec, exec, s[16:17]
	s_cbranch_execnz .LBB0_344
.LBB0_345:
	s_or_b64 exec, exec, s[14:15]
	v_mov_b32_e32 v6, 0
	global_load_dwordx2 v[3:4], v6, s[10:11] offset:16
	s_mov_b64 s[14:15], exec
	v_mbcnt_lo_u32_b32 v5, s14, 0
	v_mbcnt_hi_u32_b32 v5, s15, v5
	v_cmp_eq_u32_e32 vcc, 0, v5
	s_and_saveexec_b64 s[16:17], vcc
	s_cbranch_execz .LBB0_347
; %bb.346:
	s_bcnt1_i32_b64 s14, s[14:15]
	v_mov_b32_e32 v5, s14
	s_waitcnt vmcnt(0)
	global_atomic_add_x2 v[3:4], v[5:6], off offset:8
.LBB0_347:
	s_or_b64 exec, exec, s[16:17]
	s_waitcnt vmcnt(0)
	global_load_dwordx2 v[5:6], v[3:4], off offset:16
	s_waitcnt vmcnt(0)
	v_cmp_eq_u64_e32 vcc, 0, v[5:6]
	s_cbranch_vccnz .LBB0_349
; %bb.348:
	global_load_dword v3, v[3:4], off offset:24
	v_mov_b32_e32 v4, 0
	s_waitcnt vmcnt(0)
	v_readfirstlane_b32 s14, v3
	s_and_b32 m0, s14, 0xffffff
	global_store_dwordx2 v[5:6], v[3:4], off
	s_sendmsg sendmsg(MSG_INTERRUPT)
.LBB0_349:
	s_or_b64 exec, exec, s[12:13]
	s_branch .LBB0_353
.LBB0_350:                              ;   in Loop: Header=BB0_353 Depth=1
	s_or_b64 exec, exec, s[12:13]
	v_readfirstlane_b32 s12, v3
	s_cmp_eq_u32 s12, 0
	s_cbranch_scc1 .LBB0_352
; %bb.351:                              ;   in Loop: Header=BB0_353 Depth=1
	s_sleep 1
	s_cbranch_execnz .LBB0_353
	s_branch .LBB0_355
.LBB0_352:
	s_branch .LBB0_355
.LBB0_353:                              ; =>This Inner Loop Header: Depth=1
	v_mov_b32_e32 v3, 1
	s_and_saveexec_b64 s[12:13], s[0:1]
	s_cbranch_execz .LBB0_350
; %bb.354:                              ;   in Loop: Header=BB0_353 Depth=1
	global_load_dword v3, v[0:1], off offset:20 glc
	s_waitcnt vmcnt(0)
	buffer_wbinvl1_vol
	v_and_b32_e32 v3, 1, v3
	s_branch .LBB0_350
.LBB0_355:
	global_load_dwordx2 v[3:4], v[11:12], off
	s_and_saveexec_b64 s[12:13], s[0:1]
	s_cbranch_execz .LBB0_358
; %bb.356:
	v_mov_b32_e32 v9, 0
	global_load_dwordx2 v[0:1], v9, s[10:11] offset:40
	global_load_dwordx2 v[12:13], v9, s[10:11] offset:24 glc
	global_load_dwordx2 v[5:6], v9, s[10:11]
	s_waitcnt vmcnt(2)
	v_readfirstlane_b32 s14, v0
	v_readfirstlane_b32 s15, v1
	s_add_u32 s16, s14, 1
	s_addc_u32 s17, s15, 0
	s_add_u32 s0, s16, s2
	s_addc_u32 s1, s17, s3
	s_cmp_eq_u64 s[0:1], 0
	s_cselect_b32 s1, s17, s1
	s_cselect_b32 s0, s16, s0
	s_and_b64 s[2:3], s[0:1], s[14:15]
	s_mul_i32 s3, s3, 24
	s_mul_hi_u32 s14, s2, 24
	s_mul_i32 s2, s2, 24
	s_add_i32 s3, s14, s3
	v_mov_b32_e32 v1, s3
	s_waitcnt vmcnt(0)
	v_add_co_u32_e32 v0, vcc, s2, v5
	v_addc_co_u32_e32 v1, vcc, v6, v1, vcc
	v_mov_b32_e32 v10, s0
	global_store_dwordx2 v[0:1], v[12:13], off
	v_mov_b32_e32 v11, s1
	s_waitcnt vmcnt(0)
	global_atomic_cmpswap_x2 v[7:8], v9, v[10:13], s[10:11] offset:24 glc
	s_mov_b64 s[2:3], 0
	s_waitcnt vmcnt(0)
	v_cmp_ne_u64_e32 vcc, v[7:8], v[12:13]
	s_and_b64 exec, exec, vcc
	s_cbranch_execz .LBB0_358
.LBB0_357:                              ; =>This Inner Loop Header: Depth=1
	s_sleep 1
	global_store_dwordx2 v[0:1], v[7:8], off
	v_mov_b32_e32 v5, s0
	v_mov_b32_e32 v6, s1
	s_waitcnt vmcnt(0)
	global_atomic_cmpswap_x2 v[5:6], v9, v[5:8], s[10:11] offset:24 glc
	s_waitcnt vmcnt(0)
	v_cmp_eq_u64_e32 vcc, v[5:6], v[7:8]
	v_mov_b32_e32 v8, v6
	s_or_b64 s[2:3], vcc, s[2:3]
	v_mov_b32_e32 v7, v5
	s_andn2_b64 exec, exec, s[2:3]
	s_cbranch_execnz .LBB0_357
.LBB0_358:
	s_or_b64 exec, exec, s[12:13]
	v_readfirstlane_b32 s0, v32
	v_mov_b32_e32 v0, 0
	v_mov_b32_e32 v1, 0
	v_cmp_eq_u32_e64 s[0:1], s0, v32
	s_and_saveexec_b64 s[2:3], s[0:1]
	s_cbranch_execz .LBB0_364
; %bb.359:
	v_mov_b32_e32 v5, 0
	global_load_dwordx2 v[8:9], v5, s[10:11] offset:24 glc
	s_waitcnt vmcnt(0)
	buffer_wbinvl1_vol
	global_load_dwordx2 v[0:1], v5, s[10:11] offset:40
	global_load_dwordx2 v[6:7], v5, s[10:11]
	s_waitcnt vmcnt(1)
	v_and_b32_e32 v0, v0, v8
	v_and_b32_e32 v1, v1, v9
	v_mul_lo_u32 v1, v1, 24
	v_mul_hi_u32 v10, v0, 24
	v_mul_lo_u32 v0, v0, 24
	v_add_u32_e32 v1, v10, v1
	s_waitcnt vmcnt(0)
	v_add_co_u32_e32 v0, vcc, v6, v0
	v_addc_co_u32_e32 v1, vcc, v7, v1, vcc
	global_load_dwordx2 v[6:7], v[0:1], off glc
	s_waitcnt vmcnt(0)
	global_atomic_cmpswap_x2 v[0:1], v5, v[6:9], s[10:11] offset:24 glc
	s_waitcnt vmcnt(0)
	buffer_wbinvl1_vol
	v_cmp_ne_u64_e32 vcc, v[0:1], v[8:9]
	s_and_saveexec_b64 s[12:13], vcc
	s_cbranch_execz .LBB0_363
; %bb.360:
	s_mov_b64 s[14:15], 0
.LBB0_361:                              ; =>This Inner Loop Header: Depth=1
	s_sleep 1
	global_load_dwordx2 v[6:7], v5, s[10:11] offset:40
	global_load_dwordx2 v[10:11], v5, s[10:11]
	v_mov_b32_e32 v9, v1
	v_mov_b32_e32 v8, v0
	s_waitcnt vmcnt(1)
	v_and_b32_e32 v0, v6, v8
	s_waitcnt vmcnt(0)
	v_mad_u64_u32 v[0:1], s[16:17], v0, 24, v[10:11]
	v_and_b32_e32 v6, v7, v9
	v_mad_u64_u32 v[6:7], s[16:17], v6, 24, v[1:2]
	v_mov_b32_e32 v1, v6
	global_load_dwordx2 v[6:7], v[0:1], off glc
	s_waitcnt vmcnt(0)
	global_atomic_cmpswap_x2 v[0:1], v5, v[6:9], s[10:11] offset:24 glc
	s_waitcnt vmcnt(0)
	buffer_wbinvl1_vol
	v_cmp_eq_u64_e32 vcc, v[0:1], v[8:9]
	s_or_b64 s[14:15], vcc, s[14:15]
	s_andn2_b64 exec, exec, s[14:15]
	s_cbranch_execnz .LBB0_361
; %bb.362:
	s_or_b64 exec, exec, s[14:15]
.LBB0_363:
	s_or_b64 exec, exec, s[12:13]
.LBB0_364:
	s_or_b64 exec, exec, s[2:3]
	v_mov_b32_e32 v6, 0
	global_load_dwordx2 v[11:12], v6, s[10:11] offset:40
	global_load_dwordx4 v[7:10], v6, s[10:11]
	v_readfirstlane_b32 s3, v1
	v_readfirstlane_b32 s2, v0
	s_mov_b64 s[12:13], exec
	s_waitcnt vmcnt(1)
	v_readfirstlane_b32 s14, v11
	v_readfirstlane_b32 s15, v12
	s_and_b64 s[14:15], s[14:15], s[2:3]
	s_mul_i32 s16, s15, 24
	s_mul_hi_u32 s17, s14, 24
	s_mul_i32 s18, s14, 24
	s_add_i32 s16, s17, s16
	v_mov_b32_e32 v1, s16
	s_waitcnt vmcnt(0)
	v_add_co_u32_e32 v0, vcc, s18, v7
	v_addc_co_u32_e32 v1, vcc, v8, v1, vcc
	s_and_saveexec_b64 s[16:17], s[0:1]
	s_cbranch_execz .LBB0_366
; %bb.365:
	v_mov_b32_e32 v11, s12
	v_mov_b32_e32 v12, s13
	;; [unrolled: 1-line block ×4, first 2 shown]
	global_store_dwordx4 v[0:1], v[11:14], off offset:8
.LBB0_366:
	s_or_b64 exec, exec, s[16:17]
	s_lshl_b64 s[12:13], s[14:15], 12
	v_mov_b32_e32 v5, s13
	v_add_co_u32_e32 v9, vcc, s12, v9
	v_addc_co_u32_e32 v10, vcc, v10, v5, vcc
	s_movk_i32 s13, 0xff1d
	s_mov_b32 s12, 0
	v_and_or_b32 v3, v3, s13, 34
	v_mov_b32_e32 v5, s26
	v_readfirstlane_b32 s16, v9
	v_readfirstlane_b32 s17, v10
	s_mov_b32 s13, s12
	s_mov_b32 s14, s12
	;; [unrolled: 1-line block ×3, first 2 shown]
	s_nop 1
	global_store_dwordx4 v31, v[3:6], s[16:17]
	s_nop 0
	v_mov_b32_e32 v3, s12
	v_mov_b32_e32 v4, s13
	;; [unrolled: 1-line block ×4, first 2 shown]
	global_store_dwordx4 v31, v[3:6], s[16:17] offset:16
	global_store_dwordx4 v31, v[3:6], s[16:17] offset:32
	;; [unrolled: 1-line block ×3, first 2 shown]
	s_and_saveexec_b64 s[12:13], s[0:1]
	s_cbranch_execz .LBB0_374
; %bb.367:
	v_mov_b32_e32 v9, 0
	global_load_dwordx2 v[12:13], v9, s[10:11] offset:32 glc
	global_load_dwordx2 v[3:4], v9, s[10:11] offset:40
	v_mov_b32_e32 v10, s2
	v_mov_b32_e32 v11, s3
	s_waitcnt vmcnt(0)
	v_readfirstlane_b32 s14, v3
	v_readfirstlane_b32 s15, v4
	s_and_b64 s[14:15], s[14:15], s[2:3]
	s_mul_i32 s15, s15, 24
	s_mul_hi_u32 s16, s14, 24
	s_mul_i32 s14, s14, 24
	s_add_i32 s15, s16, s15
	v_mov_b32_e32 v3, s15
	v_add_co_u32_e32 v7, vcc, s14, v7
	v_addc_co_u32_e32 v8, vcc, v8, v3, vcc
	global_store_dwordx2 v[7:8], v[12:13], off
	s_waitcnt vmcnt(0)
	global_atomic_cmpswap_x2 v[5:6], v9, v[10:13], s[10:11] offset:32 glc
	s_waitcnt vmcnt(0)
	v_cmp_ne_u64_e32 vcc, v[5:6], v[12:13]
	s_and_saveexec_b64 s[14:15], vcc
	s_cbranch_execz .LBB0_370
; %bb.368:
	s_mov_b64 s[16:17], 0
.LBB0_369:                              ; =>This Inner Loop Header: Depth=1
	s_sleep 1
	global_store_dwordx2 v[7:8], v[5:6], off
	v_mov_b32_e32 v3, s2
	v_mov_b32_e32 v4, s3
	s_waitcnt vmcnt(0)
	global_atomic_cmpswap_x2 v[3:4], v9, v[3:6], s[10:11] offset:32 glc
	s_waitcnt vmcnt(0)
	v_cmp_eq_u64_e32 vcc, v[3:4], v[5:6]
	v_mov_b32_e32 v6, v4
	s_or_b64 s[16:17], vcc, s[16:17]
	v_mov_b32_e32 v5, v3
	s_andn2_b64 exec, exec, s[16:17]
	s_cbranch_execnz .LBB0_369
.LBB0_370:
	s_or_b64 exec, exec, s[14:15]
	v_mov_b32_e32 v6, 0
	global_load_dwordx2 v[3:4], v6, s[10:11] offset:16
	s_mov_b64 s[14:15], exec
	v_mbcnt_lo_u32_b32 v5, s14, 0
	v_mbcnt_hi_u32_b32 v5, s15, v5
	v_cmp_eq_u32_e32 vcc, 0, v5
	s_and_saveexec_b64 s[16:17], vcc
	s_cbranch_execz .LBB0_372
; %bb.371:
	s_bcnt1_i32_b64 s14, s[14:15]
	v_mov_b32_e32 v5, s14
	s_waitcnt vmcnt(0)
	global_atomic_add_x2 v[3:4], v[5:6], off offset:8
.LBB0_372:
	s_or_b64 exec, exec, s[16:17]
	s_waitcnt vmcnt(0)
	global_load_dwordx2 v[5:6], v[3:4], off offset:16
	s_waitcnt vmcnt(0)
	v_cmp_eq_u64_e32 vcc, 0, v[5:6]
	s_cbranch_vccnz .LBB0_374
; %bb.373:
	global_load_dword v3, v[3:4], off offset:24
	v_mov_b32_e32 v4, 0
	s_waitcnt vmcnt(0)
	v_readfirstlane_b32 s14, v3
	s_and_b32 m0, s14, 0xffffff
	global_store_dwordx2 v[5:6], v[3:4], off
	s_sendmsg sendmsg(MSG_INTERRUPT)
.LBB0_374:
	s_or_b64 exec, exec, s[12:13]
	s_branch .LBB0_378
.LBB0_375:                              ;   in Loop: Header=BB0_378 Depth=1
	s_or_b64 exec, exec, s[12:13]
	v_readfirstlane_b32 s12, v3
	s_cmp_eq_u32 s12, 0
	s_cbranch_scc1 .LBB0_377
; %bb.376:                              ;   in Loop: Header=BB0_378 Depth=1
	s_sleep 1
	s_cbranch_execnz .LBB0_378
	s_branch .LBB0_380
.LBB0_377:
	s_branch .LBB0_380
.LBB0_378:                              ; =>This Inner Loop Header: Depth=1
	v_mov_b32_e32 v3, 1
	s_and_saveexec_b64 s[12:13], s[0:1]
	s_cbranch_execz .LBB0_375
; %bb.379:                              ;   in Loop: Header=BB0_378 Depth=1
	global_load_dword v3, v[0:1], off offset:20 glc
	s_waitcnt vmcnt(0)
	buffer_wbinvl1_vol
	v_and_b32_e32 v3, 1, v3
	s_branch .LBB0_375
.LBB0_380:
	s_and_b64 exec, exec, s[0:1]
	s_cbranch_execz .LBB0_383
; %bb.381:
	v_mov_b32_e32 v7, 0
	global_load_dwordx2 v[0:1], v7, s[10:11] offset:40
	global_load_dwordx2 v[10:11], v7, s[10:11] offset:24 glc
	global_load_dwordx2 v[3:4], v7, s[10:11]
	s_waitcnt vmcnt(2)
	v_readfirstlane_b32 s12, v0
	v_readfirstlane_b32 s13, v1
	s_add_u32 s14, s12, 1
	s_addc_u32 s15, s13, 0
	s_add_u32 s0, s14, s2
	s_addc_u32 s1, s15, s3
	s_cmp_eq_u64 s[0:1], 0
	s_cselect_b32 s1, s15, s1
	s_cselect_b32 s0, s14, s0
	s_and_b64 s[2:3], s[0:1], s[12:13]
	s_mul_i32 s3, s3, 24
	s_mul_hi_u32 s12, s2, 24
	s_mul_i32 s2, s2, 24
	s_add_i32 s3, s12, s3
	v_mov_b32_e32 v1, s3
	s_waitcnt vmcnt(0)
	v_add_co_u32_e32 v0, vcc, s2, v3
	v_addc_co_u32_e32 v1, vcc, v4, v1, vcc
	v_mov_b32_e32 v8, s0
	global_store_dwordx2 v[0:1], v[10:11], off
	v_mov_b32_e32 v9, s1
	s_waitcnt vmcnt(0)
	global_atomic_cmpswap_x2 v[5:6], v7, v[8:11], s[10:11] offset:24 glc
	s_mov_b64 s[2:3], 0
	s_waitcnt vmcnt(0)
	v_cmp_ne_u64_e32 vcc, v[5:6], v[10:11]
	s_and_b64 exec, exec, vcc
	s_cbranch_execz .LBB0_383
.LBB0_382:                              ; =>This Inner Loop Header: Depth=1
	s_sleep 1
	global_store_dwordx2 v[0:1], v[5:6], off
	v_mov_b32_e32 v3, s0
	v_mov_b32_e32 v4, s1
	s_waitcnt vmcnt(0)
	global_atomic_cmpswap_x2 v[3:4], v7, v[3:6], s[10:11] offset:24 glc
	s_waitcnt vmcnt(0)
	v_cmp_eq_u64_e32 vcc, v[3:4], v[5:6]
	v_mov_b32_e32 v6, v4
	s_or_b64 s[2:3], vcc, s[2:3]
	v_mov_b32_e32 v5, v3
	s_andn2_b64 exec, exec, s[2:3]
	s_cbranch_execnz .LBB0_382
.LBB0_383:
	s_or_b64 exec, exec, s[8:9]
	s_waitcnt lgkmcnt(0)
	s_cmp_eq_u32 s26, 0
	s_cselect_b64 s[0:1], -1, 0
	s_and_b64 vcc, exec, s[0:1]
	s_waitcnt vmcnt(0)
	s_barrier
	s_cbranch_vccnz .LBB0_607
; %bb.384:
	s_add_i32 s2, s26, -1
	s_and_b32 s0, s26, s2
	s_cmp_eq_u32 s0, 0
	s_cselect_b64 s[0:1], -1, 0
	s_cmpk_lt_u32 s26, 0x41
	s_cselect_b64 s[8:9], -1, 0
	s_and_b64 s[8:9], s[8:9], s[0:1]
	s_mov_b64 s[0:1], -1
	s_and_b64 vcc, exec, s[8:9]
	s_cbranch_vccz .LBB0_607
; %bb.385:
	v_cvt_f32_u32_e32 v0, s26
	s_sub_i32 s3, 0, s26
	s_add_i32 s8, s2, s29
	v_mov_b32_e32 v31, 0
	v_rcp_iflag_f32_e32 v0, v0
	v_mul_f32_e32 v0, 0x4f7ffffe, v0
	v_cvt_u32_f32_e32 v0, v0
	v_readfirstlane_b32 s0, v0
	s_mul_i32 s1, s3, s0
	s_mul_hi_u32 s1, s0, s1
	s_add_i32 s0, s0, s1
	s_mul_hi_u32 s9, s8, s0
	v_mad_u64_u32 v[28:29], s[0:1], v2, s0, 0
	s_mul_i32 s0, s9, s26
	s_sub_i32 s0, s8, s0
	s_add_i32 s1, s9, 1
	s_sub_i32 s8, s0, s26
	s_cmp_ge_u32 s0, s26
	s_cselect_b32 s1, s1, s9
	s_cselect_b32 s0, s8, s0
	s_add_i32 s8, s1, 1
	s_cmp_ge_u32 s0, s26
	s_cselect_b32 s0, s8, s1
	s_mul_i32 s0, s0, s26
	s_sub_i32 s1, s29, s0
	s_sub_i32 s0, s0, s26
	v_mov_b32_e32 v0, s1
	v_cmp_le_u32_e32 vcc, s0, v2
	v_cndmask_b32_e32 v0, 0, v0, vcc
	v_add_u32_e32 v36, s26, v0
	v_and_b32_e32 v0, s2, v2
	v_cmp_lt_u32_e32 vcc, 1, v36
	s_and_saveexec_b64 s[0:1], vcc
	s_cbranch_execz .LBB0_391
; %bb.386:
	v_and_b32_e32 v3, s3, v2
	v_ashrrev_i32_e32 v4, 31, v3
	v_lshlrev_b64 v[3:4], 2, v[3:4]
	v_mov_b32_e32 v1, s27
	v_add_co_u32_e32 v5, vcc, s28, v3
	v_addc_co_u32_e32 v6, vcc, v1, v4, vcc
	v_mov_b32_e32 v1, v31
	v_lshlrev_b64 v[3:4], 2, v[0:1]
	s_mov_b64 s[2:3], 0
	v_add_co_u32_e32 v3, vcc, v5, v3
	v_addc_co_u32_e32 v4, vcc, v6, v4, vcc
	v_mov_b32_e32 v1, v36
	s_branch .LBB0_388
.LBB0_387:                              ;   in Loop: Header=BB0_388 Depth=1
	s_or_b64 exec, exec, s[8:9]
	v_cmp_gt_u32_e32 vcc, 4, v1
	s_or_b64 s[2:3], vcc, s[2:3]
	v_mov_b32_e32 v1, v7
	buffer_wbinvl1_vol
	s_andn2_b64 exec, exec, s[2:3]
	s_cbranch_execz .LBB0_390
.LBB0_388:                              ; =>This Inner Loop Header: Depth=1
	v_lshrrev_b32_e32 v7, 1, v1
	v_cmp_lt_i32_e32 vcc, v0, v7
	flat_store_dword v[3:4], v34
	s_waitcnt vmcnt(0) lgkmcnt(0)
	buffer_wbinvl1_vol
	s_and_saveexec_b64 s[8:9], vcc
	s_cbranch_execz .LBB0_387
; %bb.389:                              ;   in Loop: Header=BB0_388 Depth=1
	v_add_u32_e32 v30, v7, v0
	v_lshlrev_b64 v[8:9], 2, v[30:31]
	v_add_co_u32_e32 v8, vcc, v5, v8
	v_addc_co_u32_e32 v9, vcc, v6, v9, vcc
	flat_load_dword v8, v[8:9]
	s_waitcnt vmcnt(0) lgkmcnt(0)
	v_add_u32_e32 v34, v8, v34
	s_branch .LBB0_387
.LBB0_390:
	s_or_b64 exec, exec, s[2:3]
.LBB0_391:
	s_or_b64 exec, exec, s[0:1]
	v_cmp_eq_u32_e64 s[0:1], 0, v0
	s_and_saveexec_b64 s[8:9], s[0:1]
	s_cbranch_execz .LBB0_606
; %bb.392:
	s_load_dwordx2 s[6:7], s[6:7], 0x50
	v_mbcnt_lo_u32_b32 v0, -1, 0
	v_mbcnt_hi_u32_b32 v35, -1, v0
	v_readfirstlane_b32 s2, v35
	v_mov_b32_e32 v0, 0
	v_mov_b32_e32 v1, 0
	v_cmp_eq_u32_e64 s[2:3], s2, v35
	s_and_saveexec_b64 s[10:11], s[2:3]
	s_cbranch_execz .LBB0_398
; %bb.393:
	v_mov_b32_e32 v3, 0
	s_waitcnt lgkmcnt(0)
	global_load_dwordx2 v[6:7], v3, s[6:7] offset:24 glc
	s_waitcnt vmcnt(0)
	buffer_wbinvl1_vol
	global_load_dwordx2 v[0:1], v3, s[6:7] offset:40
	global_load_dwordx2 v[4:5], v3, s[6:7]
	s_waitcnt vmcnt(1)
	v_and_b32_e32 v0, v0, v6
	v_and_b32_e32 v1, v1, v7
	v_mul_lo_u32 v1, v1, 24
	v_mul_hi_u32 v8, v0, 24
	v_mul_lo_u32 v0, v0, 24
	v_add_u32_e32 v1, v8, v1
	s_waitcnt vmcnt(0)
	v_add_co_u32_e32 v0, vcc, v4, v0
	v_addc_co_u32_e32 v1, vcc, v5, v1, vcc
	global_load_dwordx2 v[4:5], v[0:1], off glc
	s_waitcnt vmcnt(0)
	global_atomic_cmpswap_x2 v[0:1], v3, v[4:7], s[6:7] offset:24 glc
	s_waitcnt vmcnt(0)
	buffer_wbinvl1_vol
	v_cmp_ne_u64_e32 vcc, v[0:1], v[6:7]
	s_and_saveexec_b64 s[12:13], vcc
	s_cbranch_execz .LBB0_397
; %bb.394:
	s_mov_b64 s[14:15], 0
.LBB0_395:                              ; =>This Inner Loop Header: Depth=1
	s_sleep 1
	global_load_dwordx2 v[4:5], v3, s[6:7] offset:40
	global_load_dwordx2 v[8:9], v3, s[6:7]
	v_mov_b32_e32 v7, v1
	v_mov_b32_e32 v6, v0
	s_waitcnt vmcnt(1)
	v_and_b32_e32 v0, v4, v6
	s_waitcnt vmcnt(0)
	v_mad_u64_u32 v[0:1], s[16:17], v0, 24, v[8:9]
	v_and_b32_e32 v4, v5, v7
	v_mad_u64_u32 v[4:5], s[16:17], v4, 24, v[1:2]
	v_mov_b32_e32 v1, v4
	global_load_dwordx2 v[4:5], v[0:1], off glc
	s_waitcnt vmcnt(0)
	global_atomic_cmpswap_x2 v[0:1], v3, v[4:7], s[6:7] offset:24 glc
	s_waitcnt vmcnt(0)
	buffer_wbinvl1_vol
	v_cmp_eq_u64_e32 vcc, v[0:1], v[6:7]
	s_or_b64 s[14:15], vcc, s[14:15]
	s_andn2_b64 exec, exec, s[14:15]
	s_cbranch_execnz .LBB0_395
; %bb.396:
	s_or_b64 exec, exec, s[14:15]
.LBB0_397:
	s_or_b64 exec, exec, s[12:13]
.LBB0_398:
	s_or_b64 exec, exec, s[10:11]
	v_mov_b32_e32 v7, 0
	s_waitcnt lgkmcnt(0)
	global_load_dwordx2 v[8:9], v7, s[6:7] offset:40
	global_load_dwordx4 v[3:6], v7, s[6:7]
	v_readfirstlane_b32 s11, v1
	v_readfirstlane_b32 s10, v0
	s_mov_b64 s[12:13], exec
	s_waitcnt vmcnt(1)
	v_readfirstlane_b32 s14, v8
	v_readfirstlane_b32 s15, v9
	s_and_b64 s[14:15], s[14:15], s[10:11]
	s_mul_i32 s16, s15, 24
	s_mul_hi_u32 s17, s14, 24
	s_mul_i32 s18, s14, 24
	s_add_i32 s16, s17, s16
	v_mov_b32_e32 v1, s16
	s_waitcnt vmcnt(0)
	v_add_co_u32_e32 v0, vcc, s18, v3
	v_addc_co_u32_e32 v1, vcc, v4, v1, vcc
	s_and_saveexec_b64 s[16:17], s[2:3]
	s_cbranch_execz .LBB0_400
; %bb.399:
	v_mov_b32_e32 v8, s12
	v_mov_b32_e32 v9, s13
	;; [unrolled: 1-line block ×4, first 2 shown]
	global_store_dwordx4 v[0:1], v[8:11], off offset:8
.LBB0_400:
	s_or_b64 exec, exec, s[16:17]
	s_lshl_b64 s[12:13], s[14:15], 12
	v_mov_b32_e32 v8, s13
	v_add_co_u32_e32 v5, vcc, s12, v5
	v_addc_co_u32_e32 v12, vcc, v6, v8, vcc
	v_lshlrev_b32_e32 v30, 6, v35
	s_mov_b32 s12, 0
	v_mov_b32_e32 v6, 33
	v_mov_b32_e32 v8, v7
	;; [unrolled: 1-line block ×3, first 2 shown]
	v_readfirstlane_b32 s16, v5
	v_readfirstlane_b32 s17, v12
	v_add_co_u32_e32 v10, vcc, v5, v30
	s_mov_b32 s13, s12
	s_mov_b32 s14, s12
	;; [unrolled: 1-line block ×3, first 2 shown]
	s_nop 0
	global_store_dwordx4 v30, v[6:9], s[16:17]
	v_mov_b32_e32 v5, s12
	v_addc_co_u32_e32 v11, vcc, 0, v12, vcc
	v_mov_b32_e32 v6, s13
	v_mov_b32_e32 v7, s14
	;; [unrolled: 1-line block ×3, first 2 shown]
	global_store_dwordx4 v30, v[5:8], s[16:17] offset:16
	global_store_dwordx4 v30, v[5:8], s[16:17] offset:32
	;; [unrolled: 1-line block ×3, first 2 shown]
	s_and_saveexec_b64 s[12:13], s[2:3]
	s_cbranch_execz .LBB0_408
; %bb.401:
	v_mov_b32_e32 v9, 0
	global_load_dwordx2 v[14:15], v9, s[6:7] offset:32 glc
	global_load_dwordx2 v[5:6], v9, s[6:7] offset:40
	v_mov_b32_e32 v12, s10
	v_mov_b32_e32 v13, s11
	s_waitcnt vmcnt(0)
	v_and_b32_e32 v5, s10, v5
	v_and_b32_e32 v6, s11, v6
	v_mul_lo_u32 v6, v6, 24
	v_mul_hi_u32 v7, v5, 24
	v_mul_lo_u32 v5, v5, 24
	v_add_u32_e32 v6, v7, v6
	v_add_co_u32_e32 v7, vcc, v3, v5
	v_addc_co_u32_e32 v8, vcc, v4, v6, vcc
	global_store_dwordx2 v[7:8], v[14:15], off
	s_waitcnt vmcnt(0)
	global_atomic_cmpswap_x2 v[5:6], v9, v[12:15], s[6:7] offset:32 glc
	s_waitcnt vmcnt(0)
	v_cmp_ne_u64_e32 vcc, v[5:6], v[14:15]
	s_and_saveexec_b64 s[14:15], vcc
	s_cbranch_execz .LBB0_404
; %bb.402:
	s_mov_b64 s[16:17], 0
.LBB0_403:                              ; =>This Inner Loop Header: Depth=1
	s_sleep 1
	global_store_dwordx2 v[7:8], v[5:6], off
	v_mov_b32_e32 v3, s10
	v_mov_b32_e32 v4, s11
	s_waitcnt vmcnt(0)
	global_atomic_cmpswap_x2 v[3:4], v9, v[3:6], s[6:7] offset:32 glc
	s_waitcnt vmcnt(0)
	v_cmp_eq_u64_e32 vcc, v[3:4], v[5:6]
	v_mov_b32_e32 v6, v4
	s_or_b64 s[16:17], vcc, s[16:17]
	v_mov_b32_e32 v5, v3
	s_andn2_b64 exec, exec, s[16:17]
	s_cbranch_execnz .LBB0_403
.LBB0_404:
	s_or_b64 exec, exec, s[14:15]
	v_mov_b32_e32 v6, 0
	global_load_dwordx2 v[3:4], v6, s[6:7] offset:16
	s_mov_b64 s[14:15], exec
	v_mbcnt_lo_u32_b32 v5, s14, 0
	v_mbcnt_hi_u32_b32 v5, s15, v5
	v_cmp_eq_u32_e32 vcc, 0, v5
	s_and_saveexec_b64 s[16:17], vcc
	s_cbranch_execz .LBB0_406
; %bb.405:
	s_bcnt1_i32_b64 s14, s[14:15]
	v_mov_b32_e32 v5, s14
	s_waitcnt vmcnt(0)
	global_atomic_add_x2 v[3:4], v[5:6], off offset:8
.LBB0_406:
	s_or_b64 exec, exec, s[16:17]
	s_waitcnt vmcnt(0)
	global_load_dwordx2 v[5:6], v[3:4], off offset:16
	s_waitcnt vmcnt(0)
	v_cmp_eq_u64_e32 vcc, 0, v[5:6]
	s_cbranch_vccnz .LBB0_408
; %bb.407:
	global_load_dword v3, v[3:4], off offset:24
	v_mov_b32_e32 v4, 0
	s_waitcnt vmcnt(0)
	v_readfirstlane_b32 s14, v3
	s_and_b32 m0, s14, 0xffffff
	global_store_dwordx2 v[5:6], v[3:4], off
	s_sendmsg sendmsg(MSG_INTERRUPT)
.LBB0_408:
	s_or_b64 exec, exec, s[12:13]
	s_branch .LBB0_412
.LBB0_409:                              ;   in Loop: Header=BB0_412 Depth=1
	s_or_b64 exec, exec, s[12:13]
	v_readfirstlane_b32 s12, v3
	s_cmp_eq_u32 s12, 0
	s_cbranch_scc1 .LBB0_411
; %bb.410:                              ;   in Loop: Header=BB0_412 Depth=1
	s_sleep 1
	s_cbranch_execnz .LBB0_412
	s_branch .LBB0_414
.LBB0_411:
	s_branch .LBB0_414
.LBB0_412:                              ; =>This Inner Loop Header: Depth=1
	v_mov_b32_e32 v3, 1
	s_and_saveexec_b64 s[12:13], s[2:3]
	s_cbranch_execz .LBB0_409
; %bb.413:                              ;   in Loop: Header=BB0_412 Depth=1
	global_load_dword v3, v[0:1], off offset:20 glc
	s_waitcnt vmcnt(0)
	buffer_wbinvl1_vol
	v_and_b32_e32 v3, 1, v3
	s_branch .LBB0_409
.LBB0_414:
	global_load_dwordx2 v[3:4], v[10:11], off
	s_and_saveexec_b64 s[12:13], s[2:3]
	s_cbranch_execz .LBB0_417
; %bb.415:
	v_mov_b32_e32 v9, 0
	global_load_dwordx2 v[0:1], v9, s[6:7] offset:40
	global_load_dwordx2 v[12:13], v9, s[6:7] offset:24 glc
	global_load_dwordx2 v[5:6], v9, s[6:7]
	s_waitcnt vmcnt(2)
	v_readfirstlane_b32 s14, v0
	v_readfirstlane_b32 s15, v1
	s_add_u32 s16, s14, 1
	s_addc_u32 s17, s15, 0
	s_add_u32 s2, s16, s10
	s_addc_u32 s3, s17, s11
	s_cmp_eq_u64 s[2:3], 0
	s_cselect_b32 s3, s17, s3
	s_cselect_b32 s2, s16, s2
	s_and_b64 s[10:11], s[2:3], s[14:15]
	s_mul_i32 s11, s11, 24
	s_mul_hi_u32 s14, s10, 24
	s_mul_i32 s10, s10, 24
	s_add_i32 s11, s14, s11
	v_mov_b32_e32 v1, s11
	s_waitcnt vmcnt(0)
	v_add_co_u32_e32 v0, vcc, s10, v5
	v_addc_co_u32_e32 v1, vcc, v6, v1, vcc
	v_mov_b32_e32 v10, s2
	global_store_dwordx2 v[0:1], v[12:13], off
	v_mov_b32_e32 v11, s3
	s_waitcnt vmcnt(0)
	global_atomic_cmpswap_x2 v[7:8], v9, v[10:13], s[6:7] offset:24 glc
	s_mov_b64 s[10:11], 0
	s_waitcnt vmcnt(0)
	v_cmp_ne_u64_e32 vcc, v[7:8], v[12:13]
	s_and_b64 exec, exec, vcc
	s_cbranch_execz .LBB0_417
.LBB0_416:                              ; =>This Inner Loop Header: Depth=1
	s_sleep 1
	global_store_dwordx2 v[0:1], v[7:8], off
	v_mov_b32_e32 v5, s2
	v_mov_b32_e32 v6, s3
	s_waitcnt vmcnt(0)
	global_atomic_cmpswap_x2 v[5:6], v9, v[5:8], s[6:7] offset:24 glc
	s_waitcnt vmcnt(0)
	v_cmp_eq_u64_e32 vcc, v[5:6], v[7:8]
	v_mov_b32_e32 v8, v6
	s_or_b64 s[10:11], vcc, s[10:11]
	v_mov_b32_e32 v7, v5
	s_andn2_b64 exec, exec, s[10:11]
	s_cbranch_execnz .LBB0_416
.LBB0_417:
	s_or_b64 exec, exec, s[12:13]
	s_getpc_b64 s[10:11]
	s_add_u32 s10, s10, .str.2@rel32@lo+4
	s_addc_u32 s11, s11, .str.2@rel32@hi+12
	s_cmp_lg_u64 s[10:11], 0
	s_cbranch_scc0 .LBB0_503
; %bb.418:
	v_mov_b32_e32 v1, 0
	s_waitcnt vmcnt(0)
	v_and_b32_e32 v5, -3, v3
	v_mov_b32_e32 v6, v4
	s_mov_b64 s[12:13], 0x64
	v_mov_b32_e32 v11, 2
	v_mov_b32_e32 v12, 1
	s_branch .LBB0_420
.LBB0_419:                              ;   in Loop: Header=BB0_420 Depth=1
	s_or_b64 exec, exec, s[18:19]
	s_sub_u32 s12, s12, s14
	s_subb_u32 s13, s13, s15
	s_add_u32 s10, s10, s14
	s_addc_u32 s11, s11, s15
	s_cmp_lg_u64 s[12:13], 0
	s_cbranch_scc0 .LBB0_502
.LBB0_420:                              ; =>This Loop Header: Depth=1
                                        ;     Child Loop BB0_423 Depth 2
                                        ;     Child Loop BB0_431 Depth 2
	;; [unrolled: 1-line block ×11, first 2 shown]
	v_cmp_lt_u64_e64 s[2:3], s[12:13], 56
	v_cmp_gt_u64_e64 s[16:17], s[12:13], 7
	s_and_b64 s[2:3], s[2:3], exec
	s_cselect_b32 s15, s13, 0
	s_cselect_b32 s14, s12, 56
	s_add_u32 s2, s10, 8
	s_addc_u32 s3, s11, 0
	s_and_b64 vcc, exec, s[16:17]
	s_cbranch_vccnz .LBB0_424
; %bb.421:                              ;   in Loop: Header=BB0_420 Depth=1
	s_cmp_eq_u64 s[12:13], 0
	s_cbranch_scc1 .LBB0_425
; %bb.422:                              ;   in Loop: Header=BB0_420 Depth=1
	v_mov_b32_e32 v7, 0
	s_lshl_b64 s[2:3], s[14:15], 3
	s_mov_b64 s[16:17], 0
	v_mov_b32_e32 v8, 0
	s_mov_b64 s[18:19], s[10:11]
.LBB0_423:                              ;   Parent Loop BB0_420 Depth=1
                                        ; =>  This Inner Loop Header: Depth=2
	global_load_ubyte v0, v1, s[18:19]
	s_waitcnt vmcnt(0)
	v_and_b32_e32 v0, 0xffff, v0
	v_lshlrev_b64 v[9:10], s16, v[0:1]
	s_add_u32 s16, s16, 8
	s_addc_u32 s17, s17, 0
	s_add_u32 s18, s18, 1
	s_addc_u32 s19, s19, 0
	v_or_b32_e32 v7, v9, v7
	s_cmp_lg_u32 s2, s16
	v_or_b32_e32 v8, v10, v8
	s_cbranch_scc1 .LBB0_423
	s_branch .LBB0_426
.LBB0_424:                              ;   in Loop: Header=BB0_420 Depth=1
	s_mov_b32 s20, 0
	s_branch .LBB0_427
.LBB0_425:                              ;   in Loop: Header=BB0_420 Depth=1
	v_mov_b32_e32 v7, 0
	v_mov_b32_e32 v8, 0
.LBB0_426:                              ;   in Loop: Header=BB0_420 Depth=1
	s_mov_b64 s[2:3], s[10:11]
	s_mov_b32 s20, 0
	s_cbranch_execnz .LBB0_428
.LBB0_427:                              ;   in Loop: Header=BB0_420 Depth=1
	global_load_dwordx2 v[7:8], v1, s[10:11]
	s_add_i32 s20, s14, -8
.LBB0_428:                              ;   in Loop: Header=BB0_420 Depth=1
	s_add_u32 s16, s2, 8
	s_addc_u32 s17, s3, 0
	s_cmp_gt_u32 s20, 7
	s_cbranch_scc1 .LBB0_432
; %bb.429:                              ;   in Loop: Header=BB0_420 Depth=1
	s_cmp_eq_u32 s20, 0
	s_cbranch_scc1 .LBB0_433
; %bb.430:                              ;   in Loop: Header=BB0_420 Depth=1
	v_mov_b32_e32 v13, 0
	s_mov_b64 s[16:17], 0
	v_mov_b32_e32 v14, 0
	s_mov_b64 s[18:19], 0
.LBB0_431:                              ;   Parent Loop BB0_420 Depth=1
                                        ; =>  This Inner Loop Header: Depth=2
	s_add_u32 s22, s2, s18
	s_addc_u32 s23, s3, s19
	global_load_ubyte v0, v1, s[22:23]
	s_add_u32 s18, s18, 1
	s_addc_u32 s19, s19, 0
	s_waitcnt vmcnt(0)
	v_and_b32_e32 v0, 0xffff, v0
	v_lshlrev_b64 v[9:10], s16, v[0:1]
	s_add_u32 s16, s16, 8
	s_addc_u32 s17, s17, 0
	v_or_b32_e32 v13, v9, v13
	s_cmp_lg_u32 s20, s18
	v_or_b32_e32 v14, v10, v14
	s_cbranch_scc1 .LBB0_431
	s_branch .LBB0_434
.LBB0_432:                              ;   in Loop: Header=BB0_420 Depth=1
                                        ; implicit-def: $vgpr13_vgpr14
	s_mov_b32 s21, 0
	s_branch .LBB0_435
.LBB0_433:                              ;   in Loop: Header=BB0_420 Depth=1
	v_mov_b32_e32 v13, 0
	v_mov_b32_e32 v14, 0
.LBB0_434:                              ;   in Loop: Header=BB0_420 Depth=1
	s_mov_b64 s[16:17], s[2:3]
	s_mov_b32 s21, 0
	s_cbranch_execnz .LBB0_436
.LBB0_435:                              ;   in Loop: Header=BB0_420 Depth=1
	global_load_dwordx2 v[13:14], v1, s[2:3]
	s_add_i32 s21, s20, -8
.LBB0_436:                              ;   in Loop: Header=BB0_420 Depth=1
	s_add_u32 s2, s16, 8
	s_addc_u32 s3, s17, 0
	s_cmp_gt_u32 s21, 7
	s_cbranch_scc1 .LBB0_440
; %bb.437:                              ;   in Loop: Header=BB0_420 Depth=1
	s_cmp_eq_u32 s21, 0
	s_cbranch_scc1 .LBB0_441
; %bb.438:                              ;   in Loop: Header=BB0_420 Depth=1
	v_mov_b32_e32 v15, 0
	s_mov_b64 s[2:3], 0
	v_mov_b32_e32 v16, 0
	s_mov_b64 s[18:19], 0
.LBB0_439:                              ;   Parent Loop BB0_420 Depth=1
                                        ; =>  This Inner Loop Header: Depth=2
	s_add_u32 s22, s16, s18
	s_addc_u32 s23, s17, s19
	global_load_ubyte v0, v1, s[22:23]
	s_add_u32 s18, s18, 1
	s_addc_u32 s19, s19, 0
	s_waitcnt vmcnt(0)
	v_and_b32_e32 v0, 0xffff, v0
	v_lshlrev_b64 v[9:10], s2, v[0:1]
	s_add_u32 s2, s2, 8
	s_addc_u32 s3, s3, 0
	v_or_b32_e32 v15, v9, v15
	s_cmp_lg_u32 s21, s18
	v_or_b32_e32 v16, v10, v16
	s_cbranch_scc1 .LBB0_439
	s_branch .LBB0_442
.LBB0_440:                              ;   in Loop: Header=BB0_420 Depth=1
	s_mov_b32 s20, 0
	s_branch .LBB0_443
.LBB0_441:                              ;   in Loop: Header=BB0_420 Depth=1
	v_mov_b32_e32 v15, 0
	v_mov_b32_e32 v16, 0
.LBB0_442:                              ;   in Loop: Header=BB0_420 Depth=1
	s_mov_b64 s[2:3], s[16:17]
	s_mov_b32 s20, 0
	s_cbranch_execnz .LBB0_444
.LBB0_443:                              ;   in Loop: Header=BB0_420 Depth=1
	global_load_dwordx2 v[15:16], v1, s[16:17]
	s_add_i32 s20, s21, -8
.LBB0_444:                              ;   in Loop: Header=BB0_420 Depth=1
	s_add_u32 s16, s2, 8
	s_addc_u32 s17, s3, 0
	s_cmp_gt_u32 s20, 7
	s_cbranch_scc1 .LBB0_448
; %bb.445:                              ;   in Loop: Header=BB0_420 Depth=1
	s_cmp_eq_u32 s20, 0
	s_cbranch_scc1 .LBB0_449
; %bb.446:                              ;   in Loop: Header=BB0_420 Depth=1
	v_mov_b32_e32 v17, 0
	s_mov_b64 s[16:17], 0
	v_mov_b32_e32 v18, 0
	s_mov_b64 s[18:19], 0
.LBB0_447:                              ;   Parent Loop BB0_420 Depth=1
                                        ; =>  This Inner Loop Header: Depth=2
	s_add_u32 s22, s2, s18
	s_addc_u32 s23, s3, s19
	global_load_ubyte v0, v1, s[22:23]
	s_add_u32 s18, s18, 1
	s_addc_u32 s19, s19, 0
	s_waitcnt vmcnt(0)
	v_and_b32_e32 v0, 0xffff, v0
	v_lshlrev_b64 v[9:10], s16, v[0:1]
	s_add_u32 s16, s16, 8
	s_addc_u32 s17, s17, 0
	v_or_b32_e32 v17, v9, v17
	s_cmp_lg_u32 s20, s18
	v_or_b32_e32 v18, v10, v18
	s_cbranch_scc1 .LBB0_447
	s_branch .LBB0_450
.LBB0_448:                              ;   in Loop: Header=BB0_420 Depth=1
                                        ; implicit-def: $vgpr17_vgpr18
	s_mov_b32 s21, 0
	s_branch .LBB0_451
.LBB0_449:                              ;   in Loop: Header=BB0_420 Depth=1
	v_mov_b32_e32 v17, 0
	v_mov_b32_e32 v18, 0
.LBB0_450:                              ;   in Loop: Header=BB0_420 Depth=1
	s_mov_b64 s[16:17], s[2:3]
	s_mov_b32 s21, 0
	s_cbranch_execnz .LBB0_452
.LBB0_451:                              ;   in Loop: Header=BB0_420 Depth=1
	global_load_dwordx2 v[17:18], v1, s[2:3]
	s_add_i32 s21, s20, -8
.LBB0_452:                              ;   in Loop: Header=BB0_420 Depth=1
	s_add_u32 s2, s16, 8
	s_addc_u32 s3, s17, 0
	s_cmp_gt_u32 s21, 7
	s_cbranch_scc1 .LBB0_456
; %bb.453:                              ;   in Loop: Header=BB0_420 Depth=1
	s_cmp_eq_u32 s21, 0
	s_cbranch_scc1 .LBB0_457
; %bb.454:                              ;   in Loop: Header=BB0_420 Depth=1
	v_mov_b32_e32 v19, 0
	s_mov_b64 s[2:3], 0
	v_mov_b32_e32 v20, 0
	s_mov_b64 s[18:19], 0
.LBB0_455:                              ;   Parent Loop BB0_420 Depth=1
                                        ; =>  This Inner Loop Header: Depth=2
	s_add_u32 s22, s16, s18
	s_addc_u32 s23, s17, s19
	global_load_ubyte v0, v1, s[22:23]
	s_add_u32 s18, s18, 1
	s_addc_u32 s19, s19, 0
	s_waitcnt vmcnt(0)
	v_and_b32_e32 v0, 0xffff, v0
	v_lshlrev_b64 v[9:10], s2, v[0:1]
	s_add_u32 s2, s2, 8
	s_addc_u32 s3, s3, 0
	v_or_b32_e32 v19, v9, v19
	s_cmp_lg_u32 s21, s18
	v_or_b32_e32 v20, v10, v20
	s_cbranch_scc1 .LBB0_455
	s_branch .LBB0_458
.LBB0_456:                              ;   in Loop: Header=BB0_420 Depth=1
	s_mov_b32 s20, 0
	s_branch .LBB0_459
.LBB0_457:                              ;   in Loop: Header=BB0_420 Depth=1
	v_mov_b32_e32 v19, 0
	v_mov_b32_e32 v20, 0
.LBB0_458:                              ;   in Loop: Header=BB0_420 Depth=1
	s_mov_b64 s[2:3], s[16:17]
	s_mov_b32 s20, 0
	s_cbranch_execnz .LBB0_460
.LBB0_459:                              ;   in Loop: Header=BB0_420 Depth=1
	global_load_dwordx2 v[19:20], v1, s[16:17]
	s_add_i32 s20, s21, -8
.LBB0_460:                              ;   in Loop: Header=BB0_420 Depth=1
	s_add_u32 s16, s2, 8
	s_addc_u32 s17, s3, 0
	s_cmp_gt_u32 s20, 7
	s_cbranch_scc1 .LBB0_464
; %bb.461:                              ;   in Loop: Header=BB0_420 Depth=1
	s_cmp_eq_u32 s20, 0
	s_cbranch_scc1 .LBB0_465
; %bb.462:                              ;   in Loop: Header=BB0_420 Depth=1
	v_mov_b32_e32 v21, 0
	s_mov_b64 s[16:17], 0
	v_mov_b32_e32 v22, 0
	s_mov_b64 s[18:19], 0
.LBB0_463:                              ;   Parent Loop BB0_420 Depth=1
                                        ; =>  This Inner Loop Header: Depth=2
	s_add_u32 s22, s2, s18
	s_addc_u32 s23, s3, s19
	global_load_ubyte v0, v1, s[22:23]
	s_add_u32 s18, s18, 1
	s_addc_u32 s19, s19, 0
	s_waitcnt vmcnt(0)
	v_and_b32_e32 v0, 0xffff, v0
	v_lshlrev_b64 v[9:10], s16, v[0:1]
	s_add_u32 s16, s16, 8
	s_addc_u32 s17, s17, 0
	v_or_b32_e32 v21, v9, v21
	s_cmp_lg_u32 s20, s18
	v_or_b32_e32 v22, v10, v22
	s_cbranch_scc1 .LBB0_463
	s_branch .LBB0_466
.LBB0_464:                              ;   in Loop: Header=BB0_420 Depth=1
                                        ; implicit-def: $vgpr21_vgpr22
	s_mov_b32 s21, 0
	s_branch .LBB0_467
.LBB0_465:                              ;   in Loop: Header=BB0_420 Depth=1
	v_mov_b32_e32 v21, 0
	v_mov_b32_e32 v22, 0
.LBB0_466:                              ;   in Loop: Header=BB0_420 Depth=1
	s_mov_b64 s[16:17], s[2:3]
	s_mov_b32 s21, 0
	s_cbranch_execnz .LBB0_468
.LBB0_467:                              ;   in Loop: Header=BB0_420 Depth=1
	global_load_dwordx2 v[21:22], v1, s[2:3]
	s_add_i32 s21, s20, -8
.LBB0_468:                              ;   in Loop: Header=BB0_420 Depth=1
	s_cmp_gt_u32 s21, 7
	s_cbranch_scc1 .LBB0_472
; %bb.469:                              ;   in Loop: Header=BB0_420 Depth=1
	s_cmp_eq_u32 s21, 0
	s_cbranch_scc1 .LBB0_473
; %bb.470:                              ;   in Loop: Header=BB0_420 Depth=1
	v_mov_b32_e32 v23, 0
	s_mov_b64 s[2:3], 0
	v_mov_b32_e32 v24, 0
	s_mov_b64 s[18:19], s[16:17]
.LBB0_471:                              ;   Parent Loop BB0_420 Depth=1
                                        ; =>  This Inner Loop Header: Depth=2
	global_load_ubyte v0, v1, s[18:19]
	s_add_i32 s21, s21, -1
	s_waitcnt vmcnt(0)
	v_and_b32_e32 v0, 0xffff, v0
	v_lshlrev_b64 v[9:10], s2, v[0:1]
	s_add_u32 s2, s2, 8
	s_addc_u32 s3, s3, 0
	s_add_u32 s18, s18, 1
	s_addc_u32 s19, s19, 0
	v_or_b32_e32 v23, v9, v23
	s_cmp_lg_u32 s21, 0
	v_or_b32_e32 v24, v10, v24
	s_cbranch_scc1 .LBB0_471
	s_branch .LBB0_474
.LBB0_472:                              ;   in Loop: Header=BB0_420 Depth=1
	s_branch .LBB0_475
.LBB0_473:                              ;   in Loop: Header=BB0_420 Depth=1
	v_mov_b32_e32 v23, 0
	v_mov_b32_e32 v24, 0
.LBB0_474:                              ;   in Loop: Header=BB0_420 Depth=1
	s_cbranch_execnz .LBB0_476
.LBB0_475:                              ;   in Loop: Header=BB0_420 Depth=1
	global_load_dwordx2 v[23:24], v1, s[16:17]
.LBB0_476:                              ;   in Loop: Header=BB0_420 Depth=1
	v_readfirstlane_b32 s2, v35
	v_mov_b32_e32 v9, 0
	v_mov_b32_e32 v10, 0
	v_cmp_eq_u32_e64 s[2:3], s2, v35
	s_and_saveexec_b64 s[16:17], s[2:3]
	s_cbranch_execz .LBB0_482
; %bb.477:                              ;   in Loop: Header=BB0_420 Depth=1
	global_load_dwordx2 v[27:28], v1, s[6:7] offset:24 glc
	s_waitcnt vmcnt(0)
	buffer_wbinvl1_vol
	global_load_dwordx2 v[9:10], v1, s[6:7] offset:40
	global_load_dwordx2 v[25:26], v1, s[6:7]
	s_waitcnt vmcnt(1)
	v_and_b32_e32 v0, v9, v27
	v_and_b32_e32 v9, v10, v28
	v_mul_lo_u32 v9, v9, 24
	v_mul_hi_u32 v10, v0, 24
	v_mul_lo_u32 v0, v0, 24
	v_add_u32_e32 v10, v10, v9
	s_waitcnt vmcnt(0)
	v_add_co_u32_e32 v9, vcc, v25, v0
	v_addc_co_u32_e32 v10, vcc, v26, v10, vcc
	global_load_dwordx2 v[25:26], v[9:10], off glc
	s_waitcnt vmcnt(0)
	global_atomic_cmpswap_x2 v[9:10], v1, v[25:28], s[6:7] offset:24 glc
	s_waitcnt vmcnt(0)
	buffer_wbinvl1_vol
	v_cmp_ne_u64_e32 vcc, v[9:10], v[27:28]
	s_and_saveexec_b64 s[18:19], vcc
	s_cbranch_execz .LBB0_481
; %bb.478:                              ;   in Loop: Header=BB0_420 Depth=1
	s_mov_b64 s[20:21], 0
.LBB0_479:                              ;   Parent Loop BB0_420 Depth=1
                                        ; =>  This Inner Loop Header: Depth=2
	s_sleep 1
	global_load_dwordx2 v[25:26], v1, s[6:7] offset:40
	global_load_dwordx2 v[32:33], v1, s[6:7]
	v_mov_b32_e32 v28, v10
	v_mov_b32_e32 v27, v9
	s_waitcnt vmcnt(1)
	v_and_b32_e32 v0, v25, v27
	s_waitcnt vmcnt(0)
	v_mad_u64_u32 v[9:10], s[22:23], v0, 24, v[32:33]
	v_and_b32_e32 v25, v26, v28
	v_mov_b32_e32 v0, v10
	v_mad_u64_u32 v[25:26], s[22:23], v25, 24, v[0:1]
	v_mov_b32_e32 v10, v25
	global_load_dwordx2 v[25:26], v[9:10], off glc
	s_waitcnt vmcnt(0)
	global_atomic_cmpswap_x2 v[9:10], v1, v[25:28], s[6:7] offset:24 glc
	s_waitcnt vmcnt(0)
	buffer_wbinvl1_vol
	v_cmp_eq_u64_e32 vcc, v[9:10], v[27:28]
	s_or_b64 s[20:21], vcc, s[20:21]
	s_andn2_b64 exec, exec, s[20:21]
	s_cbranch_execnz .LBB0_479
; %bb.480:                              ;   in Loop: Header=BB0_420 Depth=1
	s_or_b64 exec, exec, s[20:21]
.LBB0_481:                              ;   in Loop: Header=BB0_420 Depth=1
	s_or_b64 exec, exec, s[18:19]
.LBB0_482:                              ;   in Loop: Header=BB0_420 Depth=1
	s_or_b64 exec, exec, s[16:17]
	global_load_dwordx2 v[32:33], v1, s[6:7] offset:40
	global_load_dwordx4 v[25:28], v1, s[6:7]
	v_readfirstlane_b32 s17, v10
	v_readfirstlane_b32 s16, v9
	s_mov_b64 s[18:19], exec
	s_waitcnt vmcnt(1)
	v_readfirstlane_b32 s20, v32
	v_readfirstlane_b32 s21, v33
	s_and_b64 s[20:21], s[20:21], s[16:17]
	s_mul_i32 s22, s21, 24
	s_mul_hi_u32 s23, s20, 24
	s_mul_i32 s24, s20, 24
	s_add_i32 s22, s23, s22
	v_mov_b32_e32 v0, s22
	s_waitcnt vmcnt(0)
	v_add_co_u32_e32 v32, vcc, s24, v25
	v_addc_co_u32_e32 v33, vcc, v26, v0, vcc
	s_and_saveexec_b64 s[22:23], s[2:3]
	s_cbranch_execz .LBB0_484
; %bb.483:                              ;   in Loop: Header=BB0_420 Depth=1
	v_mov_b32_e32 v9, s18
	v_mov_b32_e32 v10, s19
	global_store_dwordx4 v[32:33], v[9:12], off offset:8
.LBB0_484:                              ;   in Loop: Header=BB0_420 Depth=1
	s_or_b64 exec, exec, s[22:23]
	s_lshl_b64 s[18:19], s[20:21], 12
	v_mov_b32_e32 v0, s19
	v_add_co_u32_e32 v27, vcc, s18, v27
	v_addc_co_u32_e32 v28, vcc, v28, v0, vcc
	v_cmp_lt_u64_e64 vcc, s[12:13], 57
	v_and_b32_e32 v0, 2, v3
	s_lshl_b32 s18, s14, 2
	v_cndmask_b32_e32 v0, 0, v0, vcc
	s_add_i32 s18, s18, 28
	v_and_b32_e32 v5, 0xffffff1f, v5
	s_and_b32 s18, s18, 0x1e0
	v_or_b32_e32 v0, v5, v0
	v_or_b32_e32 v5, s18, v0
	v_readfirstlane_b32 s18, v27
	v_readfirstlane_b32 s19, v28
	s_nop 4
	global_store_dwordx4 v30, v[5:8], s[18:19]
	global_store_dwordx4 v30, v[13:16], s[18:19] offset:16
	global_store_dwordx4 v30, v[17:20], s[18:19] offset:32
	;; [unrolled: 1-line block ×3, first 2 shown]
	s_and_saveexec_b64 s[18:19], s[2:3]
	s_cbranch_execz .LBB0_492
; %bb.485:                              ;   in Loop: Header=BB0_420 Depth=1
	global_load_dwordx2 v[15:16], v1, s[6:7] offset:32 glc
	global_load_dwordx2 v[5:6], v1, s[6:7] offset:40
	v_mov_b32_e32 v13, s16
	v_mov_b32_e32 v14, s17
	s_waitcnt vmcnt(0)
	v_readfirstlane_b32 s20, v5
	v_readfirstlane_b32 s21, v6
	s_and_b64 s[20:21], s[20:21], s[16:17]
	s_mul_i32 s21, s21, 24
	s_mul_hi_u32 s22, s20, 24
	s_mul_i32 s20, s20, 24
	s_add_i32 s21, s22, s21
	v_mov_b32_e32 v0, s21
	v_add_co_u32_e32 v9, vcc, s20, v25
	v_addc_co_u32_e32 v10, vcc, v26, v0, vcc
	global_store_dwordx2 v[9:10], v[15:16], off
	s_waitcnt vmcnt(0)
	global_atomic_cmpswap_x2 v[7:8], v1, v[13:16], s[6:7] offset:32 glc
	s_waitcnt vmcnt(0)
	v_cmp_ne_u64_e32 vcc, v[7:8], v[15:16]
	s_and_saveexec_b64 s[20:21], vcc
	s_cbranch_execz .LBB0_488
; %bb.486:                              ;   in Loop: Header=BB0_420 Depth=1
	s_mov_b64 s[22:23], 0
.LBB0_487:                              ;   Parent Loop BB0_420 Depth=1
                                        ; =>  This Inner Loop Header: Depth=2
	s_sleep 1
	global_store_dwordx2 v[9:10], v[7:8], off
	v_mov_b32_e32 v5, s16
	v_mov_b32_e32 v6, s17
	s_waitcnt vmcnt(0)
	global_atomic_cmpswap_x2 v[5:6], v1, v[5:8], s[6:7] offset:32 glc
	s_waitcnt vmcnt(0)
	v_cmp_eq_u64_e32 vcc, v[5:6], v[7:8]
	v_mov_b32_e32 v8, v6
	s_or_b64 s[22:23], vcc, s[22:23]
	v_mov_b32_e32 v7, v5
	s_andn2_b64 exec, exec, s[22:23]
	s_cbranch_execnz .LBB0_487
.LBB0_488:                              ;   in Loop: Header=BB0_420 Depth=1
	s_or_b64 exec, exec, s[20:21]
	global_load_dwordx2 v[5:6], v1, s[6:7] offset:16
	s_mov_b64 s[22:23], exec
	v_mbcnt_lo_u32_b32 v0, s22, 0
	v_mbcnt_hi_u32_b32 v0, s23, v0
	v_cmp_eq_u32_e32 vcc, 0, v0
	s_and_saveexec_b64 s[20:21], vcc
	s_cbranch_execz .LBB0_490
; %bb.489:                              ;   in Loop: Header=BB0_420 Depth=1
	s_bcnt1_i32_b64 s22, s[22:23]
	v_mov_b32_e32 v0, s22
	s_waitcnt vmcnt(0)
	global_atomic_add_x2 v[5:6], v[0:1], off offset:8
.LBB0_490:                              ;   in Loop: Header=BB0_420 Depth=1
	s_or_b64 exec, exec, s[20:21]
	s_waitcnt vmcnt(0)
	global_load_dwordx2 v[7:8], v[5:6], off offset:16
	s_waitcnt vmcnt(0)
	v_cmp_eq_u64_e32 vcc, 0, v[7:8]
	s_cbranch_vccnz .LBB0_492
; %bb.491:                              ;   in Loop: Header=BB0_420 Depth=1
	global_load_dword v0, v[5:6], off offset:24
	s_waitcnt vmcnt(0)
	v_readfirstlane_b32 s20, v0
	s_and_b32 m0, s20, 0xffffff
	global_store_dwordx2 v[7:8], v[0:1], off
	s_sendmsg sendmsg(MSG_INTERRUPT)
.LBB0_492:                              ;   in Loop: Header=BB0_420 Depth=1
	s_or_b64 exec, exec, s[18:19]
	v_add_co_u32_e32 v5, vcc, v27, v30
	v_addc_co_u32_e32 v6, vcc, 0, v28, vcc
	s_branch .LBB0_496
.LBB0_493:                              ;   in Loop: Header=BB0_496 Depth=2
	s_or_b64 exec, exec, s[18:19]
	v_readfirstlane_b32 s18, v0
	s_cmp_eq_u32 s18, 0
	s_cbranch_scc1 .LBB0_495
; %bb.494:                              ;   in Loop: Header=BB0_496 Depth=2
	s_sleep 1
	s_cbranch_execnz .LBB0_496
	s_branch .LBB0_498
.LBB0_495:                              ;   in Loop: Header=BB0_420 Depth=1
	s_branch .LBB0_498
.LBB0_496:                              ;   Parent Loop BB0_420 Depth=1
                                        ; =>  This Inner Loop Header: Depth=2
	v_mov_b32_e32 v0, 1
	s_and_saveexec_b64 s[18:19], s[2:3]
	s_cbranch_execz .LBB0_493
; %bb.497:                              ;   in Loop: Header=BB0_496 Depth=2
	global_load_dword v0, v[32:33], off offset:20 glc
	s_waitcnt vmcnt(0)
	buffer_wbinvl1_vol
	v_and_b32_e32 v0, 1, v0
	s_branch .LBB0_493
.LBB0_498:                              ;   in Loop: Header=BB0_420 Depth=1
	global_load_dwordx2 v[5:6], v[5:6], off
	s_and_saveexec_b64 s[18:19], s[2:3]
	s_cbranch_execz .LBB0_419
; %bb.499:                              ;   in Loop: Header=BB0_420 Depth=1
	global_load_dwordx2 v[7:8], v1, s[6:7] offset:40
	global_load_dwordx2 v[17:18], v1, s[6:7] offset:24 glc
	global_load_dwordx2 v[9:10], v1, s[6:7]
	s_waitcnt vmcnt(2)
	v_readfirstlane_b32 s20, v7
	v_readfirstlane_b32 s21, v8
	s_add_u32 s22, s20, 1
	s_addc_u32 s23, s21, 0
	s_add_u32 s2, s22, s16
	s_addc_u32 s3, s23, s17
	s_cmp_eq_u64 s[2:3], 0
	s_cselect_b32 s3, s23, s3
	s_cselect_b32 s2, s22, s2
	s_and_b64 s[16:17], s[2:3], s[20:21]
	s_mul_i32 s17, s17, 24
	s_mul_hi_u32 s20, s16, 24
	s_mul_i32 s16, s16, 24
	s_add_i32 s17, s20, s17
	v_mov_b32_e32 v0, s17
	s_waitcnt vmcnt(0)
	v_add_co_u32_e32 v13, vcc, s16, v9
	v_addc_co_u32_e32 v14, vcc, v10, v0, vcc
	v_mov_b32_e32 v15, s2
	global_store_dwordx2 v[13:14], v[17:18], off
	v_mov_b32_e32 v16, s3
	s_waitcnt vmcnt(0)
	global_atomic_cmpswap_x2 v[9:10], v1, v[15:18], s[6:7] offset:24 glc
	s_waitcnt vmcnt(0)
	v_cmp_ne_u64_e32 vcc, v[9:10], v[17:18]
	s_and_b64 exec, exec, vcc
	s_cbranch_execz .LBB0_419
; %bb.500:                              ;   in Loop: Header=BB0_420 Depth=1
	s_mov_b64 s[16:17], 0
.LBB0_501:                              ;   Parent Loop BB0_420 Depth=1
                                        ; =>  This Inner Loop Header: Depth=2
	s_sleep 1
	global_store_dwordx2 v[13:14], v[9:10], off
	v_mov_b32_e32 v7, s2
	v_mov_b32_e32 v8, s3
	s_waitcnt vmcnt(0)
	global_atomic_cmpswap_x2 v[7:8], v1, v[7:10], s[6:7] offset:24 glc
	s_waitcnt vmcnt(0)
	v_cmp_eq_u64_e32 vcc, v[7:8], v[9:10]
	v_mov_b32_e32 v10, v8
	s_or_b64 s[16:17], vcc, s[16:17]
	v_mov_b32_e32 v9, v7
	s_andn2_b64 exec, exec, s[16:17]
	s_cbranch_execnz .LBB0_501
	s_branch .LBB0_419
.LBB0_502:
	s_branch .LBB0_530
.LBB0_503:
                                        ; implicit-def: $vgpr5_vgpr6
	s_cbranch_execz .LBB0_530
; %bb.504:
	v_readfirstlane_b32 s2, v35
	v_mov_b32_e32 v0, 0
	v_mov_b32_e32 v1, 0
	v_cmp_eq_u32_e64 s[2:3], s2, v35
	s_and_saveexec_b64 s[10:11], s[2:3]
	s_cbranch_execz .LBB0_510
; %bb.505:
	s_waitcnt vmcnt(0)
	v_mov_b32_e32 v5, 0
	global_load_dwordx2 v[8:9], v5, s[6:7] offset:24 glc
	s_waitcnt vmcnt(0)
	buffer_wbinvl1_vol
	global_load_dwordx2 v[0:1], v5, s[6:7] offset:40
	global_load_dwordx2 v[6:7], v5, s[6:7]
	s_waitcnt vmcnt(1)
	v_and_b32_e32 v0, v0, v8
	v_and_b32_e32 v1, v1, v9
	v_mul_lo_u32 v1, v1, 24
	v_mul_hi_u32 v10, v0, 24
	v_mul_lo_u32 v0, v0, 24
	v_add_u32_e32 v1, v10, v1
	s_waitcnt vmcnt(0)
	v_add_co_u32_e32 v0, vcc, v6, v0
	v_addc_co_u32_e32 v1, vcc, v7, v1, vcc
	global_load_dwordx2 v[6:7], v[0:1], off glc
	s_waitcnt vmcnt(0)
	global_atomic_cmpswap_x2 v[0:1], v5, v[6:9], s[6:7] offset:24 glc
	s_waitcnt vmcnt(0)
	buffer_wbinvl1_vol
	v_cmp_ne_u64_e32 vcc, v[0:1], v[8:9]
	s_and_saveexec_b64 s[12:13], vcc
	s_cbranch_execz .LBB0_509
; %bb.506:
	s_mov_b64 s[14:15], 0
.LBB0_507:                              ; =>This Inner Loop Header: Depth=1
	s_sleep 1
	global_load_dwordx2 v[6:7], v5, s[6:7] offset:40
	global_load_dwordx2 v[10:11], v5, s[6:7]
	v_mov_b32_e32 v9, v1
	v_mov_b32_e32 v8, v0
	s_waitcnt vmcnt(1)
	v_and_b32_e32 v0, v6, v8
	s_waitcnt vmcnt(0)
	v_mad_u64_u32 v[0:1], s[16:17], v0, 24, v[10:11]
	v_and_b32_e32 v6, v7, v9
	v_mad_u64_u32 v[6:7], s[16:17], v6, 24, v[1:2]
	v_mov_b32_e32 v1, v6
	global_load_dwordx2 v[6:7], v[0:1], off glc
	s_waitcnt vmcnt(0)
	global_atomic_cmpswap_x2 v[0:1], v5, v[6:9], s[6:7] offset:24 glc
	s_waitcnt vmcnt(0)
	buffer_wbinvl1_vol
	v_cmp_eq_u64_e32 vcc, v[0:1], v[8:9]
	s_or_b64 s[14:15], vcc, s[14:15]
	s_andn2_b64 exec, exec, s[14:15]
	s_cbranch_execnz .LBB0_507
; %bb.508:
	s_or_b64 exec, exec, s[14:15]
.LBB0_509:
	s_or_b64 exec, exec, s[12:13]
.LBB0_510:
	s_or_b64 exec, exec, s[10:11]
	s_waitcnt vmcnt(0)
	v_mov_b32_e32 v5, 0
	global_load_dwordx2 v[11:12], v5, s[6:7] offset:40
	global_load_dwordx4 v[7:10], v5, s[6:7]
	v_readfirstlane_b32 s11, v1
	v_readfirstlane_b32 s10, v0
	s_mov_b64 s[12:13], exec
	s_waitcnt vmcnt(1)
	v_readfirstlane_b32 s14, v11
	v_readfirstlane_b32 s15, v12
	s_and_b64 s[14:15], s[14:15], s[10:11]
	s_mul_i32 s16, s15, 24
	s_mul_hi_u32 s17, s14, 24
	s_mul_i32 s18, s14, 24
	s_add_i32 s16, s17, s16
	v_mov_b32_e32 v1, s16
	s_waitcnt vmcnt(0)
	v_add_co_u32_e32 v0, vcc, s18, v7
	v_addc_co_u32_e32 v1, vcc, v8, v1, vcc
	s_and_saveexec_b64 s[16:17], s[2:3]
	s_cbranch_execz .LBB0_512
; %bb.511:
	v_mov_b32_e32 v11, s12
	v_mov_b32_e32 v12, s13
	;; [unrolled: 1-line block ×4, first 2 shown]
	global_store_dwordx4 v[0:1], v[11:14], off offset:8
.LBB0_512:
	s_or_b64 exec, exec, s[16:17]
	s_lshl_b64 s[12:13], s[14:15], 12
	v_mov_b32_e32 v6, s13
	v_add_co_u32_e32 v11, vcc, s12, v9
	v_addc_co_u32_e32 v12, vcc, v10, v6, vcc
	s_movk_i32 s12, 0xff1f
	v_and_or_b32 v3, v3, s12, 32
	s_mov_b32 s12, 0
	v_mov_b32_e32 v6, v5
	v_readfirstlane_b32 s16, v11
	v_readfirstlane_b32 s17, v12
	v_add_co_u32_e32 v9, vcc, v11, v30
	s_mov_b32 s13, s12
	s_mov_b32 s14, s12
	;; [unrolled: 1-line block ×3, first 2 shown]
	s_nop 0
	global_store_dwordx4 v30, v[3:6], s[16:17]
	v_addc_co_u32_e32 v10, vcc, 0, v12, vcc
	v_mov_b32_e32 v3, s12
	v_mov_b32_e32 v4, s13
	;; [unrolled: 1-line block ×4, first 2 shown]
	global_store_dwordx4 v30, v[3:6], s[16:17] offset:16
	global_store_dwordx4 v30, v[3:6], s[16:17] offset:32
	;; [unrolled: 1-line block ×3, first 2 shown]
	s_and_saveexec_b64 s[12:13], s[2:3]
	s_cbranch_execz .LBB0_520
; %bb.513:
	v_mov_b32_e32 v11, 0
	global_load_dwordx2 v[14:15], v11, s[6:7] offset:32 glc
	global_load_dwordx2 v[3:4], v11, s[6:7] offset:40
	v_mov_b32_e32 v12, s10
	v_mov_b32_e32 v13, s11
	s_waitcnt vmcnt(0)
	v_readfirstlane_b32 s14, v3
	v_readfirstlane_b32 s15, v4
	s_and_b64 s[14:15], s[14:15], s[10:11]
	s_mul_i32 s15, s15, 24
	s_mul_hi_u32 s16, s14, 24
	s_mul_i32 s14, s14, 24
	s_add_i32 s15, s16, s15
	v_mov_b32_e32 v3, s15
	v_add_co_u32_e32 v7, vcc, s14, v7
	v_addc_co_u32_e32 v8, vcc, v8, v3, vcc
	global_store_dwordx2 v[7:8], v[14:15], off
	s_waitcnt vmcnt(0)
	global_atomic_cmpswap_x2 v[5:6], v11, v[12:15], s[6:7] offset:32 glc
	s_waitcnt vmcnt(0)
	v_cmp_ne_u64_e32 vcc, v[5:6], v[14:15]
	s_and_saveexec_b64 s[14:15], vcc
	s_cbranch_execz .LBB0_516
; %bb.514:
	s_mov_b64 s[16:17], 0
.LBB0_515:                              ; =>This Inner Loop Header: Depth=1
	s_sleep 1
	global_store_dwordx2 v[7:8], v[5:6], off
	v_mov_b32_e32 v3, s10
	v_mov_b32_e32 v4, s11
	s_waitcnt vmcnt(0)
	global_atomic_cmpswap_x2 v[3:4], v11, v[3:6], s[6:7] offset:32 glc
	s_waitcnt vmcnt(0)
	v_cmp_eq_u64_e32 vcc, v[3:4], v[5:6]
	v_mov_b32_e32 v6, v4
	s_or_b64 s[16:17], vcc, s[16:17]
	v_mov_b32_e32 v5, v3
	s_andn2_b64 exec, exec, s[16:17]
	s_cbranch_execnz .LBB0_515
.LBB0_516:
	s_or_b64 exec, exec, s[14:15]
	v_mov_b32_e32 v6, 0
	global_load_dwordx2 v[3:4], v6, s[6:7] offset:16
	s_mov_b64 s[14:15], exec
	v_mbcnt_lo_u32_b32 v5, s14, 0
	v_mbcnt_hi_u32_b32 v5, s15, v5
	v_cmp_eq_u32_e32 vcc, 0, v5
	s_and_saveexec_b64 s[16:17], vcc
	s_cbranch_execz .LBB0_518
; %bb.517:
	s_bcnt1_i32_b64 s14, s[14:15]
	v_mov_b32_e32 v5, s14
	s_waitcnt vmcnt(0)
	global_atomic_add_x2 v[3:4], v[5:6], off offset:8
.LBB0_518:
	s_or_b64 exec, exec, s[16:17]
	s_waitcnt vmcnt(0)
	global_load_dwordx2 v[5:6], v[3:4], off offset:16
	s_waitcnt vmcnt(0)
	v_cmp_eq_u64_e32 vcc, 0, v[5:6]
	s_cbranch_vccnz .LBB0_520
; %bb.519:
	global_load_dword v3, v[3:4], off offset:24
	v_mov_b32_e32 v4, 0
	s_waitcnt vmcnt(0)
	v_readfirstlane_b32 s14, v3
	s_and_b32 m0, s14, 0xffffff
	global_store_dwordx2 v[5:6], v[3:4], off
	s_sendmsg sendmsg(MSG_INTERRUPT)
.LBB0_520:
	s_or_b64 exec, exec, s[12:13]
	s_branch .LBB0_524
.LBB0_521:                              ;   in Loop: Header=BB0_524 Depth=1
	s_or_b64 exec, exec, s[12:13]
	v_readfirstlane_b32 s12, v3
	s_cmp_eq_u32 s12, 0
	s_cbranch_scc1 .LBB0_523
; %bb.522:                              ;   in Loop: Header=BB0_524 Depth=1
	s_sleep 1
	s_cbranch_execnz .LBB0_524
	s_branch .LBB0_526
.LBB0_523:
	s_branch .LBB0_526
.LBB0_524:                              ; =>This Inner Loop Header: Depth=1
	v_mov_b32_e32 v3, 1
	s_and_saveexec_b64 s[12:13], s[2:3]
	s_cbranch_execz .LBB0_521
; %bb.525:                              ;   in Loop: Header=BB0_524 Depth=1
	global_load_dword v3, v[0:1], off offset:20 glc
	s_waitcnt vmcnt(0)
	buffer_wbinvl1_vol
	v_and_b32_e32 v3, 1, v3
	s_branch .LBB0_521
.LBB0_526:
	global_load_dwordx2 v[5:6], v[9:10], off
	s_and_saveexec_b64 s[12:13], s[2:3]
	s_cbranch_execz .LBB0_529
; %bb.527:
	v_mov_b32_e32 v3, 0
	global_load_dwordx2 v[0:1], v3, s[6:7] offset:40
	global_load_dwordx2 v[11:12], v3, s[6:7] offset:24 glc
	global_load_dwordx2 v[7:8], v3, s[6:7]
	s_waitcnt vmcnt(2)
	v_readfirstlane_b32 s14, v0
	v_readfirstlane_b32 s15, v1
	s_add_u32 s16, s14, 1
	s_addc_u32 s17, s15, 0
	s_add_u32 s2, s16, s10
	s_addc_u32 s3, s17, s11
	s_cmp_eq_u64 s[2:3], 0
	s_cselect_b32 s3, s17, s3
	s_cselect_b32 s2, s16, s2
	s_and_b64 s[10:11], s[2:3], s[14:15]
	s_mul_i32 s11, s11, 24
	s_mul_hi_u32 s14, s10, 24
	s_mul_i32 s10, s10, 24
	s_add_i32 s11, s14, s11
	v_mov_b32_e32 v1, s11
	s_waitcnt vmcnt(0)
	v_add_co_u32_e32 v0, vcc, s10, v7
	v_addc_co_u32_e32 v1, vcc, v8, v1, vcc
	v_mov_b32_e32 v9, s2
	global_store_dwordx2 v[0:1], v[11:12], off
	v_mov_b32_e32 v10, s3
	s_waitcnt vmcnt(0)
	global_atomic_cmpswap_x2 v[9:10], v3, v[9:12], s[6:7] offset:24 glc
	s_mov_b64 s[10:11], 0
	s_waitcnt vmcnt(0)
	v_cmp_ne_u64_e32 vcc, v[9:10], v[11:12]
	s_and_b64 exec, exec, vcc
	s_cbranch_execz .LBB0_529
.LBB0_528:                              ; =>This Inner Loop Header: Depth=1
	s_sleep 1
	global_store_dwordx2 v[0:1], v[9:10], off
	v_mov_b32_e32 v7, s2
	v_mov_b32_e32 v8, s3
	s_waitcnt vmcnt(0)
	global_atomic_cmpswap_x2 v[7:8], v3, v[7:10], s[6:7] offset:24 glc
	s_waitcnt vmcnt(0)
	v_cmp_eq_u64_e32 vcc, v[7:8], v[9:10]
	v_mov_b32_e32 v10, v8
	s_or_b64 s[10:11], vcc, s[10:11]
	v_mov_b32_e32 v9, v7
	s_andn2_b64 exec, exec, s[10:11]
	s_cbranch_execnz .LBB0_528
.LBB0_529:
	s_or_b64 exec, exec, s[12:13]
.LBB0_530:
	v_readfirstlane_b32 s2, v35
	v_mov_b32_e32 v0, 0
	v_mov_b32_e32 v1, 0
	v_cmp_eq_u32_e64 s[2:3], s2, v35
	s_and_saveexec_b64 s[10:11], s[2:3]
	s_cbranch_execz .LBB0_536
; %bb.531:
	s_waitcnt vmcnt(0)
	v_mov_b32_e32 v3, 0
	global_load_dwordx2 v[9:10], v3, s[6:7] offset:24 glc
	s_waitcnt vmcnt(0)
	buffer_wbinvl1_vol
	global_load_dwordx2 v[0:1], v3, s[6:7] offset:40
	global_load_dwordx2 v[7:8], v3, s[6:7]
	s_waitcnt vmcnt(1)
	v_and_b32_e32 v0, v0, v9
	v_and_b32_e32 v1, v1, v10
	v_mul_lo_u32 v1, v1, 24
	v_mul_hi_u32 v4, v0, 24
	v_mul_lo_u32 v0, v0, 24
	v_add_u32_e32 v1, v4, v1
	s_waitcnt vmcnt(0)
	v_add_co_u32_e32 v0, vcc, v7, v0
	v_addc_co_u32_e32 v1, vcc, v8, v1, vcc
	global_load_dwordx2 v[7:8], v[0:1], off glc
	s_waitcnt vmcnt(0)
	global_atomic_cmpswap_x2 v[0:1], v3, v[7:10], s[6:7] offset:24 glc
	s_waitcnt vmcnt(0)
	buffer_wbinvl1_vol
	v_cmp_ne_u64_e32 vcc, v[0:1], v[9:10]
	s_and_saveexec_b64 s[12:13], vcc
	s_cbranch_execz .LBB0_535
; %bb.532:
	s_mov_b64 s[14:15], 0
.LBB0_533:                              ; =>This Inner Loop Header: Depth=1
	s_sleep 1
	global_load_dwordx2 v[7:8], v3, s[6:7] offset:40
	global_load_dwordx2 v[11:12], v3, s[6:7]
	v_mov_b32_e32 v10, v1
	v_mov_b32_e32 v9, v0
	s_waitcnt vmcnt(1)
	v_and_b32_e32 v0, v7, v9
	s_waitcnt vmcnt(0)
	v_mad_u64_u32 v[0:1], s[16:17], v0, 24, v[11:12]
	v_and_b32_e32 v4, v8, v10
	v_mad_u64_u32 v[7:8], s[16:17], v4, 24, v[1:2]
	v_mov_b32_e32 v1, v7
	global_load_dwordx2 v[7:8], v[0:1], off glc
	s_waitcnt vmcnt(0)
	global_atomic_cmpswap_x2 v[0:1], v3, v[7:10], s[6:7] offset:24 glc
	s_waitcnt vmcnt(0)
	buffer_wbinvl1_vol
	v_cmp_eq_u64_e32 vcc, v[0:1], v[9:10]
	s_or_b64 s[14:15], vcc, s[14:15]
	s_andn2_b64 exec, exec, s[14:15]
	s_cbranch_execnz .LBB0_533
; %bb.534:
	s_or_b64 exec, exec, s[14:15]
.LBB0_535:
	s_or_b64 exec, exec, s[12:13]
.LBB0_536:
	s_or_b64 exec, exec, s[10:11]
	v_mov_b32_e32 v8, 0
	global_load_dwordx2 v[3:4], v8, s[6:7] offset:40
	global_load_dwordx4 v[9:12], v8, s[6:7]
	v_readfirstlane_b32 s11, v1
	v_readfirstlane_b32 s10, v0
	s_mov_b64 s[12:13], exec
	s_waitcnt vmcnt(1)
	v_readfirstlane_b32 s14, v3
	v_readfirstlane_b32 s15, v4
	s_and_b64 s[14:15], s[14:15], s[10:11]
	s_mul_i32 s16, s15, 24
	s_mul_hi_u32 s17, s14, 24
	s_mul_i32 s18, s14, 24
	s_add_i32 s16, s17, s16
	v_mov_b32_e32 v1, s16
	s_waitcnt vmcnt(0)
	v_add_co_u32_e32 v0, vcc, s18, v9
	v_addc_co_u32_e32 v1, vcc, v10, v1, vcc
	s_and_saveexec_b64 s[16:17], s[2:3]
	s_cbranch_execz .LBB0_538
; %bb.537:
	v_mov_b32_e32 v14, s13
	v_mov_b32_e32 v13, s12
	;; [unrolled: 1-line block ×4, first 2 shown]
	global_store_dwordx4 v[0:1], v[13:16], off offset:8
.LBB0_538:
	s_or_b64 exec, exec, s[16:17]
	s_lshl_b64 s[12:13], s[14:15], 12
	v_mov_b32_e32 v3, s13
	v_add_co_u32_e32 v4, vcc, s12, v11
	v_addc_co_u32_e32 v3, vcc, v12, v3, vcc
	s_movk_i32 s12, 0xff1f
	v_add_u32_e32 v7, -1, v36
	v_and_or_b32 v5, v5, s12, 32
	v_add_co_u32_e32 v11, vcc, v4, v30
	v_readfirstlane_b32 s16, v4
	v_readfirstlane_b32 s17, v3
	s_mov_b32 s12, 0
	v_addc_co_u32_e32 v12, vcc, 0, v3, vcc
	s_mov_b32 s13, s12
	s_mov_b32 s14, s12
	s_nop 0
	global_store_dwordx4 v30, v[5:8], s[16:17]
	s_mov_b32 s15, s12
	v_mov_b32_e32 v3, s12
	v_mov_b32_e32 v4, s13
	v_mov_b32_e32 v5, s14
	v_mov_b32_e32 v6, s15
	global_store_dwordx4 v30, v[3:6], s[16:17] offset:16
	global_store_dwordx4 v30, v[3:6], s[16:17] offset:32
	;; [unrolled: 1-line block ×3, first 2 shown]
	s_and_saveexec_b64 s[12:13], s[2:3]
	s_cbranch_execz .LBB0_546
; %bb.539:
	v_mov_b32_e32 v13, 0
	global_load_dwordx2 v[16:17], v13, s[6:7] offset:32 glc
	global_load_dwordx2 v[3:4], v13, s[6:7] offset:40
	v_mov_b32_e32 v14, s10
	v_mov_b32_e32 v15, s11
	s_waitcnt vmcnt(0)
	v_readfirstlane_b32 s14, v3
	v_readfirstlane_b32 s15, v4
	s_and_b64 s[14:15], s[14:15], s[10:11]
	s_mul_i32 s15, s15, 24
	s_mul_hi_u32 s16, s14, 24
	s_mul_i32 s14, s14, 24
	s_add_i32 s15, s16, s15
	v_mov_b32_e32 v3, s15
	v_add_co_u32_e32 v7, vcc, s14, v9
	v_addc_co_u32_e32 v8, vcc, v10, v3, vcc
	global_store_dwordx2 v[7:8], v[16:17], off
	s_waitcnt vmcnt(0)
	global_atomic_cmpswap_x2 v[5:6], v13, v[14:17], s[6:7] offset:32 glc
	s_waitcnt vmcnt(0)
	v_cmp_ne_u64_e32 vcc, v[5:6], v[16:17]
	s_and_saveexec_b64 s[14:15], vcc
	s_cbranch_execz .LBB0_542
; %bb.540:
	s_mov_b64 s[16:17], 0
.LBB0_541:                              ; =>This Inner Loop Header: Depth=1
	s_sleep 1
	global_store_dwordx2 v[7:8], v[5:6], off
	v_mov_b32_e32 v3, s10
	v_mov_b32_e32 v4, s11
	s_waitcnt vmcnt(0)
	global_atomic_cmpswap_x2 v[3:4], v13, v[3:6], s[6:7] offset:32 glc
	s_waitcnt vmcnt(0)
	v_cmp_eq_u64_e32 vcc, v[3:4], v[5:6]
	v_mov_b32_e32 v6, v4
	s_or_b64 s[16:17], vcc, s[16:17]
	v_mov_b32_e32 v5, v3
	s_andn2_b64 exec, exec, s[16:17]
	s_cbranch_execnz .LBB0_541
.LBB0_542:
	s_or_b64 exec, exec, s[14:15]
	v_mov_b32_e32 v6, 0
	global_load_dwordx2 v[3:4], v6, s[6:7] offset:16
	s_mov_b64 s[14:15], exec
	v_mbcnt_lo_u32_b32 v5, s14, 0
	v_mbcnt_hi_u32_b32 v5, s15, v5
	v_cmp_eq_u32_e32 vcc, 0, v5
	s_and_saveexec_b64 s[16:17], vcc
	s_cbranch_execz .LBB0_544
; %bb.543:
	s_bcnt1_i32_b64 s14, s[14:15]
	v_mov_b32_e32 v5, s14
	s_waitcnt vmcnt(0)
	global_atomic_add_x2 v[3:4], v[5:6], off offset:8
.LBB0_544:
	s_or_b64 exec, exec, s[16:17]
	s_waitcnt vmcnt(0)
	global_load_dwordx2 v[5:6], v[3:4], off offset:16
	s_waitcnt vmcnt(0)
	v_cmp_eq_u64_e32 vcc, 0, v[5:6]
	s_cbranch_vccnz .LBB0_546
; %bb.545:
	global_load_dword v3, v[3:4], off offset:24
	v_mov_b32_e32 v4, 0
	s_waitcnt vmcnt(0)
	v_readfirstlane_b32 s14, v3
	s_and_b32 m0, s14, 0xffffff
	global_store_dwordx2 v[5:6], v[3:4], off
	s_sendmsg sendmsg(MSG_INTERRUPT)
.LBB0_546:
	s_or_b64 exec, exec, s[12:13]
	s_branch .LBB0_550
.LBB0_547:                              ;   in Loop: Header=BB0_550 Depth=1
	s_or_b64 exec, exec, s[12:13]
	v_readfirstlane_b32 s12, v3
	s_cmp_eq_u32 s12, 0
	s_cbranch_scc1 .LBB0_549
; %bb.548:                              ;   in Loop: Header=BB0_550 Depth=1
	s_sleep 1
	s_cbranch_execnz .LBB0_550
	s_branch .LBB0_552
.LBB0_549:
	s_branch .LBB0_552
.LBB0_550:                              ; =>This Inner Loop Header: Depth=1
	v_mov_b32_e32 v3, 1
	s_and_saveexec_b64 s[12:13], s[2:3]
	s_cbranch_execz .LBB0_547
; %bb.551:                              ;   in Loop: Header=BB0_550 Depth=1
	global_load_dword v3, v[0:1], off offset:20 glc
	s_waitcnt vmcnt(0)
	buffer_wbinvl1_vol
	v_and_b32_e32 v3, 1, v3
	s_branch .LBB0_547
.LBB0_552:
	global_load_dwordx2 v[3:4], v[11:12], off
	s_and_saveexec_b64 s[12:13], s[2:3]
	s_cbranch_execz .LBB0_555
; %bb.553:
	v_mov_b32_e32 v9, 0
	global_load_dwordx2 v[0:1], v9, s[6:7] offset:40
	global_load_dwordx2 v[12:13], v9, s[6:7] offset:24 glc
	global_load_dwordx2 v[5:6], v9, s[6:7]
	s_waitcnt vmcnt(2)
	v_readfirstlane_b32 s14, v0
	v_readfirstlane_b32 s15, v1
	s_add_u32 s16, s14, 1
	s_addc_u32 s17, s15, 0
	s_add_u32 s2, s16, s10
	s_addc_u32 s3, s17, s11
	s_cmp_eq_u64 s[2:3], 0
	s_cselect_b32 s3, s17, s3
	s_cselect_b32 s2, s16, s2
	s_and_b64 s[10:11], s[2:3], s[14:15]
	s_mul_i32 s11, s11, 24
	s_mul_hi_u32 s14, s10, 24
	s_mul_i32 s10, s10, 24
	s_add_i32 s11, s14, s11
	v_mov_b32_e32 v1, s11
	s_waitcnt vmcnt(0)
	v_add_co_u32_e32 v0, vcc, s10, v5
	v_addc_co_u32_e32 v1, vcc, v6, v1, vcc
	v_mov_b32_e32 v10, s2
	global_store_dwordx2 v[0:1], v[12:13], off
	v_mov_b32_e32 v11, s3
	s_waitcnt vmcnt(0)
	global_atomic_cmpswap_x2 v[7:8], v9, v[10:13], s[6:7] offset:24 glc
	s_mov_b64 s[10:11], 0
	s_waitcnt vmcnt(0)
	v_cmp_ne_u64_e32 vcc, v[7:8], v[12:13]
	s_and_b64 exec, exec, vcc
	s_cbranch_execz .LBB0_555
.LBB0_554:                              ; =>This Inner Loop Header: Depth=1
	s_sleep 1
	global_store_dwordx2 v[0:1], v[7:8], off
	v_mov_b32_e32 v5, s2
	v_mov_b32_e32 v6, s3
	s_waitcnt vmcnt(0)
	global_atomic_cmpswap_x2 v[5:6], v9, v[5:8], s[6:7] offset:24 glc
	s_waitcnt vmcnt(0)
	v_cmp_eq_u64_e32 vcc, v[5:6], v[7:8]
	v_mov_b32_e32 v8, v6
	s_or_b64 s[10:11], vcc, s[10:11]
	v_mov_b32_e32 v7, v5
	s_andn2_b64 exec, exec, s[10:11]
	s_cbranch_execnz .LBB0_554
.LBB0_555:
	s_or_b64 exec, exec, s[12:13]
	v_readfirstlane_b32 s2, v35
	v_mov_b32_e32 v0, 0
	v_mov_b32_e32 v1, 0
	v_cmp_eq_u32_e64 s[2:3], s2, v35
	s_and_saveexec_b64 s[10:11], s[2:3]
	s_cbranch_execz .LBB0_561
; %bb.556:
	v_mov_b32_e32 v5, 0
	global_load_dwordx2 v[8:9], v5, s[6:7] offset:24 glc
	s_waitcnt vmcnt(0)
	buffer_wbinvl1_vol
	global_load_dwordx2 v[0:1], v5, s[6:7] offset:40
	global_load_dwordx2 v[6:7], v5, s[6:7]
	s_waitcnt vmcnt(1)
	v_and_b32_e32 v0, v0, v8
	v_and_b32_e32 v1, v1, v9
	v_mul_lo_u32 v1, v1, 24
	v_mul_hi_u32 v10, v0, 24
	v_mul_lo_u32 v0, v0, 24
	v_add_u32_e32 v1, v10, v1
	s_waitcnt vmcnt(0)
	v_add_co_u32_e32 v0, vcc, v6, v0
	v_addc_co_u32_e32 v1, vcc, v7, v1, vcc
	global_load_dwordx2 v[6:7], v[0:1], off glc
	s_waitcnt vmcnt(0)
	global_atomic_cmpswap_x2 v[0:1], v5, v[6:9], s[6:7] offset:24 glc
	s_waitcnt vmcnt(0)
	buffer_wbinvl1_vol
	v_cmp_ne_u64_e32 vcc, v[0:1], v[8:9]
	s_and_saveexec_b64 s[12:13], vcc
	s_cbranch_execz .LBB0_560
; %bb.557:
	s_mov_b64 s[14:15], 0
.LBB0_558:                              ; =>This Inner Loop Header: Depth=1
	s_sleep 1
	global_load_dwordx2 v[6:7], v5, s[6:7] offset:40
	global_load_dwordx2 v[10:11], v5, s[6:7]
	v_mov_b32_e32 v9, v1
	v_mov_b32_e32 v8, v0
	s_waitcnt vmcnt(1)
	v_and_b32_e32 v0, v6, v8
	s_waitcnt vmcnt(0)
	v_mad_u64_u32 v[0:1], s[16:17], v0, 24, v[10:11]
	v_and_b32_e32 v6, v7, v9
	v_mad_u64_u32 v[6:7], s[16:17], v6, 24, v[1:2]
	v_mov_b32_e32 v1, v6
	global_load_dwordx2 v[6:7], v[0:1], off glc
	s_waitcnt vmcnt(0)
	global_atomic_cmpswap_x2 v[0:1], v5, v[6:9], s[6:7] offset:24 glc
	s_waitcnt vmcnt(0)
	buffer_wbinvl1_vol
	v_cmp_eq_u64_e32 vcc, v[0:1], v[8:9]
	s_or_b64 s[14:15], vcc, s[14:15]
	s_andn2_b64 exec, exec, s[14:15]
	s_cbranch_execnz .LBB0_558
; %bb.559:
	s_or_b64 exec, exec, s[14:15]
.LBB0_560:
	s_or_b64 exec, exec, s[12:13]
.LBB0_561:
	s_or_b64 exec, exec, s[10:11]
	v_mov_b32_e32 v6, 0
	global_load_dwordx2 v[11:12], v6, s[6:7] offset:40
	global_load_dwordx4 v[7:10], v6, s[6:7]
	v_readfirstlane_b32 s11, v1
	v_readfirstlane_b32 s10, v0
	s_mov_b64 s[12:13], exec
	s_waitcnt vmcnt(1)
	v_readfirstlane_b32 s14, v11
	v_readfirstlane_b32 s15, v12
	s_and_b64 s[14:15], s[14:15], s[10:11]
	s_mul_i32 s16, s15, 24
	s_mul_hi_u32 s17, s14, 24
	s_mul_i32 s18, s14, 24
	s_add_i32 s16, s17, s16
	v_mov_b32_e32 v1, s16
	s_waitcnt vmcnt(0)
	v_add_co_u32_e32 v0, vcc, s18, v7
	v_addc_co_u32_e32 v1, vcc, v8, v1, vcc
	s_and_saveexec_b64 s[16:17], s[2:3]
	s_cbranch_execz .LBB0_563
; %bb.562:
	v_mov_b32_e32 v11, s12
	v_mov_b32_e32 v12, s13
	;; [unrolled: 1-line block ×4, first 2 shown]
	global_store_dwordx4 v[0:1], v[11:14], off offset:8
.LBB0_563:
	s_or_b64 exec, exec, s[16:17]
	s_lshl_b64 s[12:13], s[14:15], 12
	v_mov_b32_e32 v5, s13
	v_add_co_u32_e32 v9, vcc, s12, v9
	v_addc_co_u32_e32 v12, vcc, v10, v5, vcc
	v_add_co_u32_e32 v10, vcc, v9, v30
	s_mov_b32 s12, 0
	v_cndmask_b32_e64 v5, -1, v34, s[0:1]
	s_movk_i32 s0, 0xff1f
	v_addc_co_u32_e32 v11, vcc, 0, v12, vcc
	v_readfirstlane_b32 s1, v12
	s_mov_b32 s13, s12
	s_mov_b32 s14, s12
	;; [unrolled: 1-line block ×3, first 2 shown]
	v_mov_b32_e32 v12, s12
	v_and_or_b32 v3, v3, s0, 32
	v_readfirstlane_b32 s0, v9
	v_mov_b32_e32 v13, s13
	v_mov_b32_e32 v14, s14
	v_mov_b32_e32 v15, s15
	s_nop 1
	global_store_dwordx4 v30, v[3:6], s[0:1]
	global_store_dwordx4 v30, v[12:15], s[0:1] offset:16
	global_store_dwordx4 v30, v[12:15], s[0:1] offset:32
	;; [unrolled: 1-line block ×3, first 2 shown]
	s_and_saveexec_b64 s[0:1], s[2:3]
	s_cbranch_execz .LBB0_571
; %bb.564:
	v_mov_b32_e32 v12, 0
	global_load_dwordx2 v[15:16], v12, s[6:7] offset:32 glc
	global_load_dwordx2 v[3:4], v12, s[6:7] offset:40
	v_mov_b32_e32 v13, s10
	v_mov_b32_e32 v14, s11
	s_waitcnt vmcnt(0)
	v_readfirstlane_b32 s12, v3
	v_readfirstlane_b32 s13, v4
	s_and_b64 s[12:13], s[12:13], s[10:11]
	s_mul_i32 s13, s13, 24
	s_mul_hi_u32 s14, s12, 24
	s_mul_i32 s12, s12, 24
	s_add_i32 s13, s14, s13
	v_mov_b32_e32 v4, s13
	v_add_co_u32_e32 v3, vcc, s12, v7
	v_addc_co_u32_e32 v4, vcc, v8, v4, vcc
	global_store_dwordx2 v[3:4], v[15:16], off
	s_waitcnt vmcnt(0)
	global_atomic_cmpswap_x2 v[8:9], v12, v[13:16], s[6:7] offset:32 glc
	s_waitcnt vmcnt(0)
	v_cmp_ne_u64_e32 vcc, v[8:9], v[15:16]
	s_and_saveexec_b64 s[12:13], vcc
	s_cbranch_execz .LBB0_567
; %bb.565:
	s_mov_b64 s[14:15], 0
.LBB0_566:                              ; =>This Inner Loop Header: Depth=1
	s_sleep 1
	global_store_dwordx2 v[3:4], v[8:9], off
	v_mov_b32_e32 v6, s10
	v_mov_b32_e32 v7, s11
	s_waitcnt vmcnt(0)
	global_atomic_cmpswap_x2 v[6:7], v12, v[6:9], s[6:7] offset:32 glc
	s_waitcnt vmcnt(0)
	v_cmp_eq_u64_e32 vcc, v[6:7], v[8:9]
	v_mov_b32_e32 v9, v7
	s_or_b64 s[14:15], vcc, s[14:15]
	v_mov_b32_e32 v8, v6
	s_andn2_b64 exec, exec, s[14:15]
	s_cbranch_execnz .LBB0_566
.LBB0_567:
	s_or_b64 exec, exec, s[12:13]
	v_mov_b32_e32 v7, 0
	global_load_dwordx2 v[3:4], v7, s[6:7] offset:16
	s_mov_b64 s[12:13], exec
	v_mbcnt_lo_u32_b32 v6, s12, 0
	v_mbcnt_hi_u32_b32 v6, s13, v6
	v_cmp_eq_u32_e32 vcc, 0, v6
	s_and_saveexec_b64 s[14:15], vcc
	s_cbranch_execz .LBB0_569
; %bb.568:
	s_bcnt1_i32_b64 s12, s[12:13]
	v_mov_b32_e32 v6, s12
	s_waitcnt vmcnt(0)
	global_atomic_add_x2 v[3:4], v[6:7], off offset:8
.LBB0_569:
	s_or_b64 exec, exec, s[14:15]
	s_waitcnt vmcnt(0)
	global_load_dwordx2 v[6:7], v[3:4], off offset:16
	s_waitcnt vmcnt(0)
	v_cmp_eq_u64_e32 vcc, 0, v[6:7]
	s_cbranch_vccnz .LBB0_571
; %bb.570:
	global_load_dword v3, v[3:4], off offset:24
	v_mov_b32_e32 v4, 0
	s_waitcnt vmcnt(0)
	v_readfirstlane_b32 s12, v3
	s_and_b32 m0, s12, 0xffffff
	global_store_dwordx2 v[6:7], v[3:4], off
	s_sendmsg sendmsg(MSG_INTERRUPT)
.LBB0_571:
	s_or_b64 exec, exec, s[0:1]
	s_branch .LBB0_575
.LBB0_572:                              ;   in Loop: Header=BB0_575 Depth=1
	s_or_b64 exec, exec, s[0:1]
	v_readfirstlane_b32 s0, v3
	s_cmp_eq_u32 s0, 0
	s_cbranch_scc1 .LBB0_574
; %bb.573:                              ;   in Loop: Header=BB0_575 Depth=1
	s_sleep 1
	s_cbranch_execnz .LBB0_575
	s_branch .LBB0_577
.LBB0_574:
	s_branch .LBB0_577
.LBB0_575:                              ; =>This Inner Loop Header: Depth=1
	v_mov_b32_e32 v3, 1
	s_and_saveexec_b64 s[0:1], s[2:3]
	s_cbranch_execz .LBB0_572
; %bb.576:                              ;   in Loop: Header=BB0_575 Depth=1
	global_load_dword v3, v[0:1], off offset:20 glc
	s_waitcnt vmcnt(0)
	buffer_wbinvl1_vol
	v_and_b32_e32 v3, 1, v3
	s_branch .LBB0_572
.LBB0_577:
	global_load_dwordx2 v[0:1], v[10:11], off
	s_and_saveexec_b64 s[0:1], s[2:3]
	s_cbranch_execz .LBB0_580
; %bb.578:
	v_mov_b32_e32 v10, 0
	global_load_dwordx2 v[3:4], v10, s[6:7] offset:40
	global_load_dwordx2 v[13:14], v10, s[6:7] offset:24 glc
	global_load_dwordx2 v[6:7], v10, s[6:7]
	s_waitcnt vmcnt(2)
	v_readfirstlane_b32 s12, v3
	v_readfirstlane_b32 s13, v4
	s_add_u32 s14, s12, 1
	s_addc_u32 s15, s13, 0
	s_add_u32 s2, s14, s10
	s_addc_u32 s3, s15, s11
	s_cmp_eq_u64 s[2:3], 0
	s_cselect_b32 s3, s15, s3
	s_cselect_b32 s2, s14, s2
	s_and_b64 s[10:11], s[2:3], s[12:13]
	s_mul_i32 s11, s11, 24
	s_mul_hi_u32 s12, s10, 24
	s_mul_i32 s10, s10, 24
	s_add_i32 s11, s12, s11
	v_mov_b32_e32 v4, s11
	s_waitcnt vmcnt(0)
	v_add_co_u32_e32 v3, vcc, s10, v6
	v_addc_co_u32_e32 v4, vcc, v7, v4, vcc
	v_mov_b32_e32 v11, s2
	global_store_dwordx2 v[3:4], v[13:14], off
	v_mov_b32_e32 v12, s3
	s_waitcnt vmcnt(0)
	global_atomic_cmpswap_x2 v[8:9], v10, v[11:14], s[6:7] offset:24 glc
	s_mov_b64 s[10:11], 0
	s_waitcnt vmcnt(0)
	v_cmp_ne_u64_e32 vcc, v[8:9], v[13:14]
	s_and_b64 exec, exec, vcc
	s_cbranch_execz .LBB0_580
.LBB0_579:                              ; =>This Inner Loop Header: Depth=1
	s_sleep 1
	global_store_dwordx2 v[3:4], v[8:9], off
	v_mov_b32_e32 v6, s2
	v_mov_b32_e32 v7, s3
	s_waitcnt vmcnt(0)
	global_atomic_cmpswap_x2 v[6:7], v10, v[6:9], s[6:7] offset:24 glc
	s_waitcnt vmcnt(0)
	v_cmp_eq_u64_e32 vcc, v[6:7], v[8:9]
	v_mov_b32_e32 v9, v7
	s_or_b64 s[10:11], vcc, s[10:11]
	v_mov_b32_e32 v8, v6
	s_andn2_b64 exec, exec, s[10:11]
	s_cbranch_execnz .LBB0_579
.LBB0_580:
	s_or_b64 exec, exec, s[0:1]
	v_readfirstlane_b32 s0, v35
	v_mov_b32_e32 v3, 0
	v_mov_b32_e32 v4, 0
	v_cmp_eq_u32_e64 s[0:1], s0, v35
	s_and_saveexec_b64 s[2:3], s[0:1]
	s_cbranch_execz .LBB0_586
; %bb.581:
	v_mov_b32_e32 v6, 0
	global_load_dwordx2 v[9:10], v6, s[6:7] offset:24 glc
	s_waitcnt vmcnt(0)
	buffer_wbinvl1_vol
	global_load_dwordx2 v[3:4], v6, s[6:7] offset:40
	global_load_dwordx2 v[7:8], v6, s[6:7]
	s_waitcnt vmcnt(1)
	v_and_b32_e32 v3, v3, v9
	v_and_b32_e32 v4, v4, v10
	v_mul_lo_u32 v4, v4, 24
	v_mul_hi_u32 v11, v3, 24
	v_mul_lo_u32 v3, v3, 24
	v_add_u32_e32 v4, v11, v4
	s_waitcnt vmcnt(0)
	v_add_co_u32_e32 v3, vcc, v7, v3
	v_addc_co_u32_e32 v4, vcc, v8, v4, vcc
	global_load_dwordx2 v[7:8], v[3:4], off glc
	s_waitcnt vmcnt(0)
	global_atomic_cmpswap_x2 v[3:4], v6, v[7:10], s[6:7] offset:24 glc
	s_waitcnt vmcnt(0)
	buffer_wbinvl1_vol
	v_cmp_ne_u64_e32 vcc, v[3:4], v[9:10]
	s_and_saveexec_b64 s[10:11], vcc
	s_cbranch_execz .LBB0_585
; %bb.582:
	s_mov_b64 s[12:13], 0
.LBB0_583:                              ; =>This Inner Loop Header: Depth=1
	s_sleep 1
	global_load_dwordx2 v[7:8], v6, s[6:7] offset:40
	global_load_dwordx2 v[11:12], v6, s[6:7]
	v_mov_b32_e32 v10, v4
	v_mov_b32_e32 v9, v3
	s_waitcnt vmcnt(1)
	v_and_b32_e32 v3, v7, v9
	s_waitcnt vmcnt(0)
	v_mad_u64_u32 v[3:4], s[14:15], v3, 24, v[11:12]
	v_and_b32_e32 v7, v8, v10
	v_mad_u64_u32 v[7:8], s[14:15], v7, 24, v[4:5]
	v_mov_b32_e32 v4, v7
	global_load_dwordx2 v[7:8], v[3:4], off glc
	s_waitcnt vmcnt(0)
	global_atomic_cmpswap_x2 v[3:4], v6, v[7:10], s[6:7] offset:24 glc
	s_waitcnt vmcnt(0)
	buffer_wbinvl1_vol
	v_cmp_eq_u64_e32 vcc, v[3:4], v[9:10]
	s_or_b64 s[12:13], vcc, s[12:13]
	s_andn2_b64 exec, exec, s[12:13]
	s_cbranch_execnz .LBB0_583
; %bb.584:
	s_or_b64 exec, exec, s[12:13]
.LBB0_585:
	s_or_b64 exec, exec, s[10:11]
.LBB0_586:
	s_or_b64 exec, exec, s[2:3]
	v_mov_b32_e32 v12, 0
	global_load_dwordx2 v[10:11], v12, s[6:7] offset:40
	global_load_dwordx4 v[6:9], v12, s[6:7]
	v_readfirstlane_b32 s3, v4
	v_readfirstlane_b32 s2, v3
	s_mov_b64 s[10:11], exec
	s_waitcnt vmcnt(1)
	v_readfirstlane_b32 s12, v10
	v_readfirstlane_b32 s13, v11
	s_and_b64 s[12:13], s[12:13], s[2:3]
	s_mul_i32 s14, s13, 24
	s_mul_hi_u32 s15, s12, 24
	s_mul_i32 s16, s12, 24
	s_add_i32 s14, s15, s14
	v_mov_b32_e32 v3, s14
	s_waitcnt vmcnt(0)
	v_add_co_u32_e32 v10, vcc, s16, v6
	v_addc_co_u32_e32 v11, vcc, v7, v3, vcc
	s_and_saveexec_b64 s[14:15], s[0:1]
	s_cbranch_execz .LBB0_588
; %bb.587:
	v_mov_b32_e32 v13, s11
	v_mov_b32_e32 v12, s10
	;; [unrolled: 1-line block ×4, first 2 shown]
	global_store_dwordx4 v[10:11], v[12:15], off offset:8
.LBB0_588:
	s_or_b64 exec, exec, s[14:15]
	s_lshl_b64 s[10:11], s[12:13], 12
	v_mov_b32_e32 v3, s11
	v_add_co_u32_e32 v4, vcc, s10, v8
	s_mov_b32 s12, 0
	v_addc_co_u32_e32 v8, vcc, v9, v3, vcc
	s_movk_i32 s10, 0xff1d
	s_mov_b32 s13, s12
	s_mov_b32 s14, s12
	;; [unrolled: 1-line block ×3, first 2 shown]
	v_mov_b32_e32 v12, s12
	v_and_or_b32 v0, v0, s10, 34
	v_mov_b32_e32 v3, v31
	v_readfirstlane_b32 s10, v4
	v_readfirstlane_b32 s11, v8
	v_mov_b32_e32 v13, s13
	v_mov_b32_e32 v14, s14
	;; [unrolled: 1-line block ×3, first 2 shown]
	s_nop 1
	global_store_dwordx4 v30, v[0:3], s[10:11]
	global_store_dwordx4 v30, v[12:15], s[10:11] offset:16
	global_store_dwordx4 v30, v[12:15], s[10:11] offset:32
	;; [unrolled: 1-line block ×3, first 2 shown]
	s_and_saveexec_b64 s[10:11], s[0:1]
	s_cbranch_execz .LBB0_596
; %bb.589:
	v_mov_b32_e32 v3, 0
	global_load_dwordx2 v[14:15], v3, s[6:7] offset:32 glc
	global_load_dwordx2 v[0:1], v3, s[6:7] offset:40
	v_mov_b32_e32 v12, s2
	v_mov_b32_e32 v13, s3
	s_waitcnt vmcnt(0)
	v_readfirstlane_b32 s12, v0
	v_readfirstlane_b32 s13, v1
	s_and_b64 s[12:13], s[12:13], s[2:3]
	s_mul_i32 s13, s13, 24
	s_mul_hi_u32 s14, s12, 24
	s_mul_i32 s12, s12, 24
	s_add_i32 s13, s14, s13
	v_mov_b32_e32 v1, s13
	v_add_co_u32_e32 v0, vcc, s12, v6
	v_addc_co_u32_e32 v1, vcc, v7, v1, vcc
	global_store_dwordx2 v[0:1], v[14:15], off
	s_waitcnt vmcnt(0)
	global_atomic_cmpswap_x2 v[8:9], v3, v[12:15], s[6:7] offset:32 glc
	s_waitcnt vmcnt(0)
	v_cmp_ne_u64_e32 vcc, v[8:9], v[14:15]
	s_and_saveexec_b64 s[12:13], vcc
	s_cbranch_execz .LBB0_592
; %bb.590:
	s_mov_b64 s[14:15], 0
.LBB0_591:                              ; =>This Inner Loop Header: Depth=1
	s_sleep 1
	global_store_dwordx2 v[0:1], v[8:9], off
	v_mov_b32_e32 v6, s2
	v_mov_b32_e32 v7, s3
	s_waitcnt vmcnt(0)
	global_atomic_cmpswap_x2 v[6:7], v3, v[6:9], s[6:7] offset:32 glc
	s_waitcnt vmcnt(0)
	v_cmp_eq_u64_e32 vcc, v[6:7], v[8:9]
	v_mov_b32_e32 v9, v7
	s_or_b64 s[14:15], vcc, s[14:15]
	v_mov_b32_e32 v8, v6
	s_andn2_b64 exec, exec, s[14:15]
	s_cbranch_execnz .LBB0_591
.LBB0_592:
	s_or_b64 exec, exec, s[12:13]
	v_mov_b32_e32 v4, 0
	global_load_dwordx2 v[0:1], v4, s[6:7] offset:16
	s_mov_b64 s[12:13], exec
	v_mbcnt_lo_u32_b32 v3, s12, 0
	v_mbcnt_hi_u32_b32 v3, s13, v3
	v_cmp_eq_u32_e32 vcc, 0, v3
	s_and_saveexec_b64 s[14:15], vcc
	s_cbranch_execz .LBB0_594
; %bb.593:
	s_bcnt1_i32_b64 s12, s[12:13]
	v_mov_b32_e32 v3, s12
	s_waitcnt vmcnt(0)
	global_atomic_add_x2 v[0:1], v[3:4], off offset:8
.LBB0_594:
	s_or_b64 exec, exec, s[14:15]
	s_waitcnt vmcnt(0)
	global_load_dwordx2 v[3:4], v[0:1], off offset:16
	s_waitcnt vmcnt(0)
	v_cmp_eq_u64_e32 vcc, 0, v[3:4]
	s_cbranch_vccnz .LBB0_596
; %bb.595:
	global_load_dword v0, v[0:1], off offset:24
	v_mov_b32_e32 v1, 0
	s_waitcnt vmcnt(0)
	v_readfirstlane_b32 s12, v0
	s_and_b32 m0, s12, 0xffffff
	global_store_dwordx2 v[3:4], v[0:1], off
	s_sendmsg sendmsg(MSG_INTERRUPT)
.LBB0_596:
	s_or_b64 exec, exec, s[10:11]
	s_branch .LBB0_600
.LBB0_597:                              ;   in Loop: Header=BB0_600 Depth=1
	s_or_b64 exec, exec, s[10:11]
	v_readfirstlane_b32 s10, v0
	s_cmp_eq_u32 s10, 0
	s_cbranch_scc1 .LBB0_599
; %bb.598:                              ;   in Loop: Header=BB0_600 Depth=1
	s_sleep 1
	s_cbranch_execnz .LBB0_600
	s_branch .LBB0_602
.LBB0_599:
	s_branch .LBB0_602
.LBB0_600:                              ; =>This Inner Loop Header: Depth=1
	v_mov_b32_e32 v0, 1
	s_and_saveexec_b64 s[10:11], s[0:1]
	s_cbranch_execz .LBB0_597
; %bb.601:                              ;   in Loop: Header=BB0_600 Depth=1
	global_load_dword v0, v[10:11], off offset:20 glc
	s_waitcnt vmcnt(0)
	buffer_wbinvl1_vol
	v_and_b32_e32 v0, 1, v0
	s_branch .LBB0_597
.LBB0_602:
	s_and_saveexec_b64 s[10:11], s[0:1]
	s_cbranch_execz .LBB0_605
; %bb.603:
	v_mov_b32_e32 v3, 0
	global_load_dwordx2 v[0:1], v3, s[6:7] offset:40
	global_load_dwordx2 v[10:11], v3, s[6:7] offset:24 glc
	global_load_dwordx2 v[6:7], v3, s[6:7]
	s_waitcnt vmcnt(2)
	v_readfirstlane_b32 s12, v0
	v_readfirstlane_b32 s13, v1
	s_add_u32 s14, s12, 1
	s_addc_u32 s15, s13, 0
	s_add_u32 s0, s14, s2
	s_addc_u32 s1, s15, s3
	s_cmp_eq_u64 s[0:1], 0
	s_cselect_b32 s1, s15, s1
	s_cselect_b32 s0, s14, s0
	s_and_b64 s[2:3], s[0:1], s[12:13]
	s_mul_i32 s3, s3, 24
	s_mul_hi_u32 s12, s2, 24
	s_mul_i32 s2, s2, 24
	s_add_i32 s3, s12, s3
	v_mov_b32_e32 v1, s3
	s_waitcnt vmcnt(0)
	v_add_co_u32_e32 v0, vcc, s2, v6
	v_addc_co_u32_e32 v1, vcc, v7, v1, vcc
	v_mov_b32_e32 v8, s0
	global_store_dwordx2 v[0:1], v[10:11], off
	v_mov_b32_e32 v9, s1
	s_waitcnt vmcnt(0)
	global_atomic_cmpswap_x2 v[8:9], v3, v[8:11], s[6:7] offset:24 glc
	s_mov_b64 s[2:3], 0
	s_waitcnt vmcnt(0)
	v_cmp_ne_u64_e32 vcc, v[8:9], v[10:11]
	s_and_b64 exec, exec, vcc
	s_cbranch_execz .LBB0_605
.LBB0_604:                              ; =>This Inner Loop Header: Depth=1
	s_sleep 1
	global_store_dwordx2 v[0:1], v[8:9], off
	v_mov_b32_e32 v6, s0
	v_mov_b32_e32 v7, s1
	s_waitcnt vmcnt(0)
	global_atomic_cmpswap_x2 v[6:7], v3, v[6:9], s[6:7] offset:24 glc
	s_waitcnt vmcnt(0)
	v_cmp_eq_u64_e32 vcc, v[6:7], v[8:9]
	v_mov_b32_e32 v9, v7
	s_or_b64 s[2:3], vcc, s[2:3]
	v_mov_b32_e32 v8, v6
	s_andn2_b64 exec, exec, s[2:3]
	s_cbranch_execnz .LBB0_604
.LBB0_605:
	s_or_b64 exec, exec, s[10:11]
	v_mul_lo_u32 v0, v29, s26
	v_add_u32_e32 v1, 1, v29
	s_load_dwordx2 s[0:1], s[4:5], 0x8
	v_sub_u32_e32 v0, v2, v0
	v_cmp_le_u32_e32 vcc, s26, v0
	v_subrev_u32_e32 v2, s26, v0
	v_cndmask_b32_e32 v1, v29, v1, vcc
	v_cndmask_b32_e32 v0, v0, v2, vcc
	v_add_u32_e32 v2, 1, v1
	v_cmp_le_u32_e32 vcc, s26, v0
	v_cndmask_b32_e32 v0, v1, v2, vcc
	v_mov_b32_e32 v1, 0
	v_lshlrev_b64 v[0:1], 2, v[0:1]
	s_waitcnt lgkmcnt(0)
	v_mov_b32_e32 v2, s1
	v_add_co_u32_e32 v0, vcc, s0, v0
	v_addc_co_u32_e32 v1, vcc, v2, v1, vcc
	global_store_dword v[0:1], v5, off
.LBB0_606:
	s_or_b64 exec, exec, s[8:9]
	s_mov_b64 s[0:1], 0
.LBB0_607:
	s_and_b64 vcc, exec, s[0:1]
	s_cbranch_vccnz .LBB0_609
; %bb.608:
	s_endpgm
.LBB0_609:
	s_trap 2
	; divergent unreachable
	s_endpgm
	.section	.rodata,"a",@progbits
	.p2align	6, 0x0
	.amdhsa_kernel _Z33kernel_cg_group_partition_dynamicjPibS_
		.amdhsa_group_segment_fixed_size 0
		.amdhsa_private_segment_fixed_size 0
		.amdhsa_kernarg_size 288
		.amdhsa_user_sgpr_count 6
		.amdhsa_user_sgpr_private_segment_buffer 1
		.amdhsa_user_sgpr_dispatch_ptr 0
		.amdhsa_user_sgpr_queue_ptr 0
		.amdhsa_user_sgpr_kernarg_segment_ptr 1
		.amdhsa_user_sgpr_dispatch_id 0
		.amdhsa_user_sgpr_flat_scratch_init 0
		.amdhsa_user_sgpr_private_segment_size 0
		.amdhsa_uses_dynamic_stack 0
		.amdhsa_system_sgpr_private_segment_wavefront_offset 0
		.amdhsa_system_sgpr_workgroup_id_x 1
		.amdhsa_system_sgpr_workgroup_id_y 0
		.amdhsa_system_sgpr_workgroup_id_z 0
		.amdhsa_system_sgpr_workgroup_info 0
		.amdhsa_system_vgpr_workitem_id 2
		.amdhsa_next_free_vgpr 37
		.amdhsa_next_free_sgpr 31
		.amdhsa_reserve_vcc 1
		.amdhsa_reserve_flat_scratch 0
		.amdhsa_float_round_mode_32 0
		.amdhsa_float_round_mode_16_64 0
		.amdhsa_float_denorm_mode_32 3
		.amdhsa_float_denorm_mode_16_64 3
		.amdhsa_dx10_clamp 1
		.amdhsa_ieee_mode 1
		.amdhsa_fp16_overflow 0
		.amdhsa_exception_fp_ieee_invalid_op 0
		.amdhsa_exception_fp_denorm_src 0
		.amdhsa_exception_fp_ieee_div_zero 0
		.amdhsa_exception_fp_ieee_overflow 0
		.amdhsa_exception_fp_ieee_underflow 0
		.amdhsa_exception_fp_ieee_inexact 0
		.amdhsa_exception_int_div_zero 0
	.end_amdhsa_kernel
	.text
.Lfunc_end0:
	.size	_Z33kernel_cg_group_partition_dynamicjPibS_, .Lfunc_end0-_Z33kernel_cg_group_partition_dynamicjPibS_
                                        ; -- End function
	.set _Z33kernel_cg_group_partition_dynamicjPibS_.num_vgpr, 37
	.set _Z33kernel_cg_group_partition_dynamicjPibS_.num_agpr, 0
	.set _Z33kernel_cg_group_partition_dynamicjPibS_.numbered_sgpr, 31
	.set _Z33kernel_cg_group_partition_dynamicjPibS_.num_named_barrier, 0
	.set _Z33kernel_cg_group_partition_dynamicjPibS_.private_seg_size, 0
	.set _Z33kernel_cg_group_partition_dynamicjPibS_.uses_vcc, 1
	.set _Z33kernel_cg_group_partition_dynamicjPibS_.uses_flat_scratch, 0
	.set _Z33kernel_cg_group_partition_dynamicjPibS_.has_dyn_sized_stack, 0
	.set _Z33kernel_cg_group_partition_dynamicjPibS_.has_recursion, 0
	.set _Z33kernel_cg_group_partition_dynamicjPibS_.has_indirect_call, 0
	.section	.AMDGPU.csdata,"",@progbits
; Kernel info:
; codeLenInByte = 22780
; TotalNumSgprs: 35
; NumVgprs: 37
; ScratchSize: 0
; MemoryBound: 0
; FloatMode: 240
; IeeeMode: 1
; LDSByteSize: 0 bytes/workgroup (compile time only)
; SGPRBlocks: 4
; VGPRBlocks: 9
; NumSGPRsForWavesPerEU: 35
; NumVGPRsForWavesPerEU: 37
; Occupancy: 6
; WaveLimiterHint : 1
; COMPUTE_PGM_RSRC2:SCRATCH_EN: 0
; COMPUTE_PGM_RSRC2:USER_SGPR: 6
; COMPUTE_PGM_RSRC2:TRAP_HANDLER: 0
; COMPUTE_PGM_RSRC2:TGID_X_EN: 1
; COMPUTE_PGM_RSRC2:TGID_Y_EN: 0
; COMPUTE_PGM_RSRC2:TGID_Z_EN: 0
; COMPUTE_PGM_RSRC2:TIDIG_COMP_CNT: 2
	.text
	.protected	_Z32kernel_cg_group_partition_nestedjjPibS_ ; -- Begin function _Z32kernel_cg_group_partition_nestedjjPibS_
	.globl	_Z32kernel_cg_group_partition_nestedjjPibS_
	.p2align	8
	.type	_Z32kernel_cg_group_partition_nestedjjPibS_,@function
_Z32kernel_cg_group_partition_nestedjjPibS_: ; @_Z32kernel_cg_group_partition_nestedjjPibS_
; %bb.0:
	s_load_dwordx2 s[6:7], s[4:5], 0x0
	s_waitcnt lgkmcnt(0)
	s_cmp_eq_u32 s6, 0
	s_cselect_b64 s[0:1], -1, 0
	s_and_b64 vcc, exec, s[0:1]
	s_cbranch_vccnz .LBB1_10
; %bb.1:
	s_add_i32 s12, s6, -1
	s_and_b32 s0, s6, s12
	s_cmp_eq_u32 s0, 0
	s_cselect_b64 s[0:1], -1, 0
	s_cmpk_lt_u32 s6, 0x41
	s_cselect_b64 s[2:3], -1, 0
	s_and_b64 s[0:1], s[2:3], s[0:1]
	s_and_b64 vcc, exec, s[0:1]
	s_cbranch_vccz .LBB1_9
; %bb.2:
	v_cvt_f32_u32_e32 v3, s6
	s_add_u32 s8, s4, 32
	s_addc_u32 s9, s5, 0
	s_cmp_eq_u32 s7, 0
	v_rcp_iflag_f32_e32 v3, v3
	s_cselect_b64 s[2:3], -1, 0
	s_cmp_lg_u32 s7, 0
	v_mul_f32_e32 v3, 0x4f7ffffe, v3
	v_cvt_u32_f32_e32 v3, v3
	v_readfirstlane_b32 s0, v3
	s_cbranch_scc0 .LBB1_278
; %bb.3:
	s_add_i32 s1, s7, -1
	s_and_b32 s1, s7, s1
	s_cmp_eq_u32 s1, 0
	s_cselect_b64 s[2:3], -1, 0
	s_cmpk_lt_u32 s7, 0x41
	s_cselect_b64 s[10:11], -1, 0
	s_and_b64 s[10:11], s[10:11], s[2:3]
	s_mov_b64 s[2:3], -1
	s_and_b64 vcc, exec, s[10:11]
	s_cbranch_vccz .LBB1_278
; %bb.4:
	s_load_dwordx2 s[2:3], s[4:5], 0x2c
	v_mov_b32_e32 v3, s7
	s_waitcnt lgkmcnt(0)
	s_and_b32 s1, s3, 0xffff
	s_lshr_b32 s3, s2, 16
	s_and_b32 s2, s2, 0xffff
	s_mul_i32 s10, s3, s2
	v_mad_u32_u24 v1, v2, s3, v1
	s_mul_i32 s10, s10, s1
	v_mad_u64_u32 v[0:1], s[2:3], v1, s2, v[0:1]
	s_sub_i32 s1, 0, s6
	s_mul_i32 s1, s1, s0
	s_mul_hi_u32 s1, s0, s1
	s_add_i32 s2, s12, s10
	s_add_i32 s0, s0, s1
	s_mul_hi_u32 s3, s2, s0
	v_mad_u64_u32 v[1:2], s[0:1], v0, s0, 0
	s_mul_i32 s0, s3, s6
	s_sub_i32 s0, s2, s0
	s_add_i32 s1, s3, 1
	s_sub_i32 s2, s0, s6
	s_cmp_ge_u32 s0, s6
	s_cselect_b32 s1, s1, s3
	s_cselect_b32 s0, s2, s0
	s_add_i32 s2, s1, 1
	s_cmp_ge_u32 s0, s6
	s_cselect_b32 s0, s2, s1
	s_mul_i32 s0, s0, s6
	s_sub_i32 s1, s10, s0
	s_sub_i32 s0, s0, s6
	v_mov_b32_e32 v1, s1
	v_cmp_le_u32_e32 vcc, s0, v0
	v_cndmask_b32_e32 v1, 0, v1, vcc
	s_cmp_gt_u32 s6, s7
	v_add_u32_e32 v1, s6, v1
	s_cselect_b64 vcc, -1, 0
	s_min_u32 s2, s6, s7
	v_cndmask_b32_e32 v8, v1, v3, vcc
	s_add_i32 s0, s2, -1
	v_and_b32_e32 v3, s0, v0
	v_cmp_lt_u32_e32 vcc, 1, v8
	v_mov_b32_e32 v1, v0
	s_and_saveexec_b64 s[0:1], vcc
	s_cbranch_execz .LBB1_12
; %bb.5:
	s_load_dword s3, s[4:5], 0x10
	s_load_dwordx2 s[14:15], s[4:5], 0x18
	s_mov_b64 s[10:11], src_shared_base
	s_waitcnt lgkmcnt(0)
	s_and_b32 s3, 1, s3
	s_cmp_lg_u32 0, -1
	s_cselect_b32 s10, 0, 0
	s_cselect_b32 s11, s11, 0
	s_cmp_eq_u32 s3, 1
	s_cselect_b32 s3, s15, s11
	s_cselect_b32 s10, s14, s10
	s_sub_i32 s2, 0, s2
	v_and_b32_e32 v4, s2, v0
	v_ashrrev_i32_e32 v5, 31, v4
	v_lshlrev_b64 v[4:5], 2, v[4:5]
	v_mov_b32_e32 v1, s3
	v_add_co_u32_e32 v9, vcc, s10, v4
	v_addc_co_u32_e32 v10, vcc, v1, v5, vcc
	v_mov_b32_e32 v5, 0
	v_mov_b32_e32 v4, v5
	v_lshlrev_b64 v[6:7], 2, v[3:4]
	s_mov_b64 s[2:3], 0
	v_add_co_u32_e32 v6, vcc, v9, v6
	v_addc_co_u32_e32 v7, vcc, v10, v7, vcc
	v_mov_b32_e32 v1, v0
	s_branch .LBB1_7
.LBB1_6:                                ;   in Loop: Header=BB1_7 Depth=1
	s_or_b64 exec, exec, s[10:11]
	v_cmp_gt_u32_e32 vcc, 4, v8
	s_or_b64 s[2:3], vcc, s[2:3]
	v_mov_b32_e32 v8, v11
	buffer_wbinvl1_vol
	s_andn2_b64 exec, exec, s[2:3]
	s_cbranch_execz .LBB1_11
.LBB1_7:                                ; =>This Inner Loop Header: Depth=1
	v_lshrrev_b32_e32 v11, 1, v8
	v_cmp_lt_i32_e32 vcc, v3, v11
	flat_store_dword v[6:7], v1
	s_waitcnt vmcnt(0) lgkmcnt(0)
	buffer_wbinvl1_vol
	s_and_saveexec_b64 s[10:11], vcc
	s_cbranch_execz .LBB1_6
; %bb.8:                                ;   in Loop: Header=BB1_7 Depth=1
	v_add_u32_e32 v4, v11, v3
	v_lshlrev_b64 v[12:13], 2, v[4:5]
	v_add_co_u32_e32 v12, vcc, v9, v12
	v_addc_co_u32_e32 v13, vcc, v10, v13, vcc
	flat_load_dword v4, v[12:13]
	s_waitcnt vmcnt(0) lgkmcnt(0)
	v_add_u32_e32 v1, v4, v1
	s_branch .LBB1_6
.LBB1_9:
	s_mov_b64 s[0:1], -1
.LBB1_10:
	s_mov_b64 s[2:3], 0
	s_and_b64 vcc, exec, s[0:1]
	s_cbranch_vccz .LBB1_280
	s_branch .LBB1_283
.LBB1_11:
	s_or_b64 exec, exec, s[2:3]
.LBB1_12:
	s_or_b64 exec, exec, s[0:1]
	v_cmp_eq_u32_e32 vcc, 0, v3
	s_and_saveexec_b64 s[2:3], vcc
	s_cbranch_execz .LBB1_277
; %bb.13:
	v_cvt_f32_u32_e32 v3, s7
	s_sub_i32 s10, 0, s7
	v_mul_lo_u32 v4, v2, s6
	v_and_b32_e32 v6, s12, v0
	v_rcp_iflag_f32_e32 v3, v3
	v_add_u32_e32 v5, 1, v2
	v_sub_u32_e32 v0, v0, v4
	v_cmp_le_u32_e64 s[0:1], s6, v0
	v_mul_f32_e32 v3, 0x4f7ffffe, v3
	v_cvt_u32_f32_e32 v3, v3
	v_cndmask_b32_e64 v2, v2, v5, s[0:1]
	v_subrev_u32_e32 v4, s6, v0
	v_cndmask_b32_e64 v0, v0, v4, s[0:1]
	v_readfirstlane_b32 s11, v3
	s_mul_i32 s10, s10, s11
	s_mul_hi_u32 s10, s11, s10
	s_add_i32 s11, s11, s10
	v_mul_hi_u32 v3, v6, s11
	v_add_u32_e32 v4, 1, v2
	v_cmp_le_u32_e64 s[0:1], s6, v0
	v_cndmask_b32_e64 v34, v2, v4, s[0:1]
	v_mul_lo_u32 v5, v3, s7
	v_add_u32_e32 v0, 1, v3
	v_sub_u32_e32 v2, v6, v5
	v_cmp_le_u32_e64 s[0:1], s7, v2
	v_cndmask_b32_e64 v0, v3, v0, s[0:1]
	v_subrev_u32_e32 v3, s7, v2
	v_cndmask_b32_e64 v2, v2, v3, s[0:1]
	v_add_u32_e32 v3, 1, v0
	v_cmp_le_u32_e64 s[0:1], s7, v2
	v_cndmask_b32_e64 v5, v0, v3, s[0:1]
	s_mul_hi_u32 s0, s6, s11
	s_mul_i32 s1, s0, s7
	s_sub_i32 s1, s6, s1
	s_add_i32 s10, s0, 1
	s_sub_i32 s11, s1, s7
	s_cmp_ge_u32 s1, s7
	s_cselect_b32 s0, s10, s0
	s_cselect_b32 s1, s11, s1
	s_add_i32 s10, s0, 1
	s_cmp_ge_u32 s1, s7
	s_cselect_b32 s0, s10, s0
	v_mad_u64_u32 v[3:4], s[0:1], s0, v34, v[5:6]
	s_load_dwordx2 s[0:1], s[4:5], 0x8
	v_cndmask_b32_e32 v2, -1, v1, vcc
	v_ashrrev_i32_e32 v4, 31, v3
	v_lshlrev_b64 v[0:1], 2, v[3:4]
	s_waitcnt lgkmcnt(0)
	v_mov_b32_e32 v3, s1
	v_add_co_u32_e32 v0, vcc, s0, v0
	v_addc_co_u32_e32 v1, vcc, v3, v1, vcc
	global_store_dword v[0:1], v2, off
	s_load_dwordx2 s[4:5], s[8:9], 0x50
	v_mbcnt_lo_u32_b32 v0, -1, 0
	v_mbcnt_hi_u32_b32 v33, -1, v0
	v_readfirstlane_b32 s0, v33
	v_mov_b32_e32 v0, 0
	v_mov_b32_e32 v1, 0
	v_cmp_eq_u32_e64 s[0:1], s0, v33
	s_and_saveexec_b64 s[8:9], s[0:1]
	s_cbranch_execz .LBB1_19
; %bb.14:
	v_mov_b32_e32 v3, 0
	s_waitcnt lgkmcnt(0)
	global_load_dwordx2 v[8:9], v3, s[4:5] offset:24 glc
	s_waitcnt vmcnt(0)
	buffer_wbinvl1_vol
	global_load_dwordx2 v[0:1], v3, s[4:5] offset:40
	global_load_dwordx2 v[6:7], v3, s[4:5]
	s_waitcnt vmcnt(1)
	v_and_b32_e32 v0, v0, v8
	v_and_b32_e32 v1, v1, v9
	v_mul_lo_u32 v1, v1, 24
	v_mul_hi_u32 v4, v0, 24
	v_mul_lo_u32 v0, v0, 24
	v_add_u32_e32 v1, v4, v1
	s_waitcnt vmcnt(0)
	v_add_co_u32_e32 v0, vcc, v6, v0
	v_addc_co_u32_e32 v1, vcc, v7, v1, vcc
	global_load_dwordx2 v[6:7], v[0:1], off glc
	s_waitcnt vmcnt(0)
	global_atomic_cmpswap_x2 v[0:1], v3, v[6:9], s[4:5] offset:24 glc
	s_waitcnt vmcnt(0)
	buffer_wbinvl1_vol
	v_cmp_ne_u64_e32 vcc, v[0:1], v[8:9]
	s_and_saveexec_b64 s[10:11], vcc
	s_cbranch_execz .LBB1_18
; %bb.15:
	s_mov_b64 s[12:13], 0
.LBB1_16:                               ; =>This Inner Loop Header: Depth=1
	s_sleep 1
	global_load_dwordx2 v[6:7], v3, s[4:5] offset:40
	global_load_dwordx2 v[10:11], v3, s[4:5]
	v_mov_b32_e32 v9, v1
	v_mov_b32_e32 v8, v0
	s_waitcnt vmcnt(1)
	v_and_b32_e32 v0, v6, v8
	s_waitcnt vmcnt(0)
	v_mad_u64_u32 v[0:1], s[14:15], v0, 24, v[10:11]
	v_and_b32_e32 v4, v7, v9
	v_mad_u64_u32 v[6:7], s[14:15], v4, 24, v[1:2]
	v_mov_b32_e32 v1, v6
	global_load_dwordx2 v[6:7], v[0:1], off glc
	s_waitcnt vmcnt(0)
	global_atomic_cmpswap_x2 v[0:1], v3, v[6:9], s[4:5] offset:24 glc
	s_waitcnt vmcnt(0)
	buffer_wbinvl1_vol
	v_cmp_eq_u64_e32 vcc, v[0:1], v[8:9]
	s_or_b64 s[12:13], vcc, s[12:13]
	s_andn2_b64 exec, exec, s[12:13]
	s_cbranch_execnz .LBB1_16
; %bb.17:
	s_or_b64 exec, exec, s[12:13]
.LBB1_18:
	s_or_b64 exec, exec, s[10:11]
.LBB1_19:
	s_or_b64 exec, exec, s[8:9]
	v_mov_b32_e32 v10, 0
	s_waitcnt lgkmcnt(0)
	global_load_dwordx2 v[3:4], v10, s[4:5] offset:40
	global_load_dwordx4 v[6:9], v10, s[4:5]
	v_readfirstlane_b32 s9, v1
	v_readfirstlane_b32 s8, v0
	s_mov_b64 s[10:11], exec
	s_waitcnt vmcnt(1)
	v_readfirstlane_b32 s12, v3
	v_readfirstlane_b32 s13, v4
	s_and_b64 s[12:13], s[12:13], s[8:9]
	s_mul_i32 s14, s13, 24
	s_mul_hi_u32 s15, s12, 24
	s_mul_i32 s16, s12, 24
	s_add_i32 s14, s15, s14
	v_mov_b32_e32 v1, s14
	s_waitcnt vmcnt(0)
	v_add_co_u32_e32 v0, vcc, s16, v6
	v_addc_co_u32_e32 v1, vcc, v7, v1, vcc
	s_and_saveexec_b64 s[14:15], s[0:1]
	s_cbranch_execz .LBB1_21
; %bb.20:
	v_mov_b32_e32 v12, s11
	v_mov_b32_e32 v11, s10
	;; [unrolled: 1-line block ×4, first 2 shown]
	global_store_dwordx4 v[0:1], v[11:14], off offset:8
.LBB1_21:
	s_or_b64 exec, exec, s[14:15]
	s_lshl_b64 s[10:11], s[12:13], 12
	v_mov_b32_e32 v3, s11
	v_add_co_u32_e32 v8, vcc, s10, v8
	v_addc_co_u32_e32 v13, vcc, v9, v3, vcc
	v_lshlrev_b32_e32 v32, 6, v33
	s_mov_b32 s12, 0
	v_mov_b32_e32 v9, 33
	v_mov_b32_e32 v11, v10
	;; [unrolled: 1-line block ×3, first 2 shown]
	v_readfirstlane_b32 s10, v8
	v_readfirstlane_b32 s11, v13
	v_add_co_u32_e32 v3, vcc, v8, v32
	s_mov_b32 s13, s12
	s_mov_b32 s14, s12
	s_mov_b32 s15, s12
	s_nop 0
	global_store_dwordx4 v32, v[9:12], s[10:11]
	v_mov_b32_e32 v8, s12
	v_addc_co_u32_e32 v4, vcc, 0, v13, vcc
	v_mov_b32_e32 v9, s13
	v_mov_b32_e32 v10, s14
	;; [unrolled: 1-line block ×3, first 2 shown]
	global_store_dwordx4 v32, v[8:11], s[10:11] offset:16
	global_store_dwordx4 v32, v[8:11], s[10:11] offset:32
	;; [unrolled: 1-line block ×3, first 2 shown]
	s_and_saveexec_b64 s[10:11], s[0:1]
	s_cbranch_execz .LBB1_29
; %bb.22:
	v_mov_b32_e32 v12, 0
	global_load_dwordx2 v[15:16], v12, s[4:5] offset:32 glc
	global_load_dwordx2 v[8:9], v12, s[4:5] offset:40
	v_mov_b32_e32 v13, s8
	v_mov_b32_e32 v14, s9
	s_waitcnt vmcnt(0)
	v_and_b32_e32 v8, s8, v8
	v_and_b32_e32 v9, s9, v9
	v_mul_lo_u32 v9, v9, 24
	v_mul_hi_u32 v10, v8, 24
	v_mul_lo_u32 v8, v8, 24
	v_add_u32_e32 v9, v10, v9
	v_add_co_u32_e32 v10, vcc, v6, v8
	v_addc_co_u32_e32 v11, vcc, v7, v9, vcc
	global_store_dwordx2 v[10:11], v[15:16], off
	s_waitcnt vmcnt(0)
	global_atomic_cmpswap_x2 v[8:9], v12, v[13:16], s[4:5] offset:32 glc
	s_waitcnt vmcnt(0)
	v_cmp_ne_u64_e32 vcc, v[8:9], v[15:16]
	s_and_saveexec_b64 s[12:13], vcc
	s_cbranch_execz .LBB1_25
; %bb.23:
	s_mov_b64 s[14:15], 0
.LBB1_24:                               ; =>This Inner Loop Header: Depth=1
	s_sleep 1
	global_store_dwordx2 v[10:11], v[8:9], off
	v_mov_b32_e32 v6, s8
	v_mov_b32_e32 v7, s9
	s_waitcnt vmcnt(0)
	global_atomic_cmpswap_x2 v[6:7], v12, v[6:9], s[4:5] offset:32 glc
	s_waitcnt vmcnt(0)
	v_cmp_eq_u64_e32 vcc, v[6:7], v[8:9]
	v_mov_b32_e32 v9, v7
	s_or_b64 s[14:15], vcc, s[14:15]
	v_mov_b32_e32 v8, v6
	s_andn2_b64 exec, exec, s[14:15]
	s_cbranch_execnz .LBB1_24
.LBB1_25:
	s_or_b64 exec, exec, s[12:13]
	v_mov_b32_e32 v9, 0
	global_load_dwordx2 v[6:7], v9, s[4:5] offset:16
	s_mov_b64 s[12:13], exec
	v_mbcnt_lo_u32_b32 v8, s12, 0
	v_mbcnt_hi_u32_b32 v8, s13, v8
	v_cmp_eq_u32_e32 vcc, 0, v8
	s_and_saveexec_b64 s[14:15], vcc
	s_cbranch_execz .LBB1_27
; %bb.26:
	s_bcnt1_i32_b64 s12, s[12:13]
	v_mov_b32_e32 v8, s12
	s_waitcnt vmcnt(0)
	global_atomic_add_x2 v[6:7], v[8:9], off offset:8
.LBB1_27:
	s_or_b64 exec, exec, s[14:15]
	s_waitcnt vmcnt(0)
	global_load_dwordx2 v[8:9], v[6:7], off offset:16
	s_waitcnt vmcnt(0)
	v_cmp_eq_u64_e32 vcc, 0, v[8:9]
	s_cbranch_vccnz .LBB1_29
; %bb.28:
	global_load_dword v6, v[6:7], off offset:24
	v_mov_b32_e32 v7, 0
	s_waitcnt vmcnt(0)
	v_readfirstlane_b32 s12, v6
	s_and_b32 m0, s12, 0xffffff
	global_store_dwordx2 v[8:9], v[6:7], off
	s_sendmsg sendmsg(MSG_INTERRUPT)
.LBB1_29:
	s_or_b64 exec, exec, s[10:11]
	s_branch .LBB1_33
.LBB1_30:                               ;   in Loop: Header=BB1_33 Depth=1
	s_or_b64 exec, exec, s[10:11]
	v_readfirstlane_b32 s10, v6
	s_cmp_eq_u32 s10, 0
	s_cbranch_scc1 .LBB1_32
; %bb.31:                               ;   in Loop: Header=BB1_33 Depth=1
	s_sleep 1
	s_cbranch_execnz .LBB1_33
	s_branch .LBB1_35
.LBB1_32:
	s_branch .LBB1_35
.LBB1_33:                               ; =>This Inner Loop Header: Depth=1
	v_mov_b32_e32 v6, 1
	s_and_saveexec_b64 s[10:11], s[0:1]
	s_cbranch_execz .LBB1_30
; %bb.34:                               ;   in Loop: Header=BB1_33 Depth=1
	global_load_dword v6, v[0:1], off offset:20 glc
	s_waitcnt vmcnt(0)
	buffer_wbinvl1_vol
	v_and_b32_e32 v6, 1, v6
	s_branch .LBB1_30
.LBB1_35:
	global_load_dwordx2 v[6:7], v[3:4], off
	s_and_saveexec_b64 s[10:11], s[0:1]
	s_cbranch_execz .LBB1_38
; %bb.36:
	v_mov_b32_e32 v3, 0
	global_load_dwordx2 v[0:1], v3, s[4:5] offset:40
	global_load_dwordx2 v[12:13], v3, s[4:5] offset:24 glc
	global_load_dwordx2 v[8:9], v3, s[4:5]
	s_waitcnt vmcnt(2)
	v_readfirstlane_b32 s12, v0
	v_readfirstlane_b32 s13, v1
	s_add_u32 s14, s12, 1
	s_addc_u32 s15, s13, 0
	s_add_u32 s0, s14, s8
	s_addc_u32 s1, s15, s9
	s_cmp_eq_u64 s[0:1], 0
	s_cselect_b32 s1, s15, s1
	s_cselect_b32 s0, s14, s0
	s_and_b64 s[8:9], s[0:1], s[12:13]
	s_mul_i32 s9, s9, 24
	s_mul_hi_u32 s12, s8, 24
	s_mul_i32 s8, s8, 24
	s_add_i32 s9, s12, s9
	v_mov_b32_e32 v1, s9
	s_waitcnt vmcnt(0)
	v_add_co_u32_e32 v0, vcc, s8, v8
	v_addc_co_u32_e32 v1, vcc, v9, v1, vcc
	v_mov_b32_e32 v10, s0
	global_store_dwordx2 v[0:1], v[12:13], off
	v_mov_b32_e32 v11, s1
	s_waitcnt vmcnt(0)
	global_atomic_cmpswap_x2 v[10:11], v3, v[10:13], s[4:5] offset:24 glc
	s_mov_b64 s[8:9], 0
	s_waitcnt vmcnt(0)
	v_cmp_ne_u64_e32 vcc, v[10:11], v[12:13]
	s_and_b64 exec, exec, vcc
	s_cbranch_execz .LBB1_38
.LBB1_37:                               ; =>This Inner Loop Header: Depth=1
	s_sleep 1
	global_store_dwordx2 v[0:1], v[10:11], off
	v_mov_b32_e32 v8, s0
	v_mov_b32_e32 v9, s1
	s_waitcnt vmcnt(0)
	global_atomic_cmpswap_x2 v[8:9], v3, v[8:11], s[4:5] offset:24 glc
	s_waitcnt vmcnt(0)
	v_cmp_eq_u64_e32 vcc, v[8:9], v[10:11]
	v_mov_b32_e32 v11, v9
	s_or_b64 s[8:9], vcc, s[8:9]
	v_mov_b32_e32 v10, v8
	s_andn2_b64 exec, exec, s[8:9]
	s_cbranch_execnz .LBB1_37
.LBB1_38:
	s_or_b64 exec, exec, s[10:11]
	s_getpc_b64 s[8:9]
	s_add_u32 s8, s8, .str.3@rel32@lo+4
	s_addc_u32 s9, s9, .str.3@rel32@hi+12
	s_cmp_lg_u64 s[8:9], 0
	s_cbranch_scc0 .LBB1_124
; %bb.39:
	s_waitcnt vmcnt(0)
	v_and_b32_e32 v35, 2, v6
	v_mov_b32_e32 v1, 0
	v_and_b32_e32 v8, -3, v6
	v_mov_b32_e32 v9, v7
	s_mov_b64 s[10:11], 0x43
	v_mov_b32_e32 v14, 2
	v_mov_b32_e32 v15, 1
	s_branch .LBB1_41
.LBB1_40:                               ;   in Loop: Header=BB1_41 Depth=1
	s_or_b64 exec, exec, s[16:17]
	s_sub_u32 s10, s10, s12
	s_subb_u32 s11, s11, s13
	s_add_u32 s8, s8, s12
	s_addc_u32 s9, s9, s13
	s_cmp_lg_u64 s[10:11], 0
	s_cbranch_scc0 .LBB1_123
.LBB1_41:                               ; =>This Loop Header: Depth=1
                                        ;     Child Loop BB1_44 Depth 2
                                        ;     Child Loop BB1_52 Depth 2
	;; [unrolled: 1-line block ×11, first 2 shown]
	v_cmp_lt_u64_e64 s[0:1], s[10:11], 56
	v_cmp_gt_u64_e64 s[14:15], s[10:11], 7
	s_and_b64 s[0:1], s[0:1], exec
	s_cselect_b32 s13, s11, 0
	s_cselect_b32 s12, s10, 56
	s_add_u32 s0, s8, 8
	s_addc_u32 s1, s9, 0
	s_and_b64 vcc, exec, s[14:15]
	s_cbranch_vccnz .LBB1_45
; %bb.42:                               ;   in Loop: Header=BB1_41 Depth=1
	s_cmp_eq_u64 s[10:11], 0
	s_cbranch_scc1 .LBB1_46
; %bb.43:                               ;   in Loop: Header=BB1_41 Depth=1
	v_mov_b32_e32 v10, 0
	s_lshl_b64 s[0:1], s[12:13], 3
	s_mov_b64 s[14:15], 0
	v_mov_b32_e32 v11, 0
	s_mov_b64 s[16:17], s[8:9]
.LBB1_44:                               ;   Parent Loop BB1_41 Depth=1
                                        ; =>  This Inner Loop Header: Depth=2
	global_load_ubyte v0, v1, s[16:17]
	s_waitcnt vmcnt(0)
	v_and_b32_e32 v0, 0xffff, v0
	v_lshlrev_b64 v[3:4], s14, v[0:1]
	s_add_u32 s14, s14, 8
	s_addc_u32 s15, s15, 0
	s_add_u32 s16, s16, 1
	s_addc_u32 s17, s17, 0
	v_or_b32_e32 v10, v3, v10
	s_cmp_lg_u32 s0, s14
	v_or_b32_e32 v11, v4, v11
	s_cbranch_scc1 .LBB1_44
	s_branch .LBB1_47
.LBB1_45:                               ;   in Loop: Header=BB1_41 Depth=1
	s_mov_b32 s18, 0
	s_branch .LBB1_48
.LBB1_46:                               ;   in Loop: Header=BB1_41 Depth=1
	v_mov_b32_e32 v10, 0
	v_mov_b32_e32 v11, 0
.LBB1_47:                               ;   in Loop: Header=BB1_41 Depth=1
	s_mov_b64 s[0:1], s[8:9]
	s_mov_b32 s18, 0
	s_cbranch_execnz .LBB1_49
.LBB1_48:                               ;   in Loop: Header=BB1_41 Depth=1
	global_load_dwordx2 v[10:11], v1, s[8:9]
	s_add_i32 s18, s12, -8
.LBB1_49:                               ;   in Loop: Header=BB1_41 Depth=1
	s_add_u32 s14, s0, 8
	s_addc_u32 s15, s1, 0
	s_cmp_gt_u32 s18, 7
	s_cbranch_scc1 .LBB1_53
; %bb.50:                               ;   in Loop: Header=BB1_41 Depth=1
	s_cmp_eq_u32 s18, 0
	s_cbranch_scc1 .LBB1_54
; %bb.51:                               ;   in Loop: Header=BB1_41 Depth=1
	v_mov_b32_e32 v16, 0
	s_mov_b64 s[14:15], 0
	v_mov_b32_e32 v17, 0
	s_mov_b64 s[16:17], 0
.LBB1_52:                               ;   Parent Loop BB1_41 Depth=1
                                        ; =>  This Inner Loop Header: Depth=2
	s_add_u32 s20, s0, s16
	s_addc_u32 s21, s1, s17
	global_load_ubyte v0, v1, s[20:21]
	s_add_u32 s16, s16, 1
	s_addc_u32 s17, s17, 0
	s_waitcnt vmcnt(0)
	v_and_b32_e32 v0, 0xffff, v0
	v_lshlrev_b64 v[3:4], s14, v[0:1]
	s_add_u32 s14, s14, 8
	s_addc_u32 s15, s15, 0
	v_or_b32_e32 v16, v3, v16
	s_cmp_lg_u32 s18, s16
	v_or_b32_e32 v17, v4, v17
	s_cbranch_scc1 .LBB1_52
	s_branch .LBB1_55
.LBB1_53:                               ;   in Loop: Header=BB1_41 Depth=1
                                        ; implicit-def: $vgpr16_vgpr17
	s_mov_b32 s19, 0
	s_branch .LBB1_56
.LBB1_54:                               ;   in Loop: Header=BB1_41 Depth=1
	v_mov_b32_e32 v16, 0
	v_mov_b32_e32 v17, 0
.LBB1_55:                               ;   in Loop: Header=BB1_41 Depth=1
	s_mov_b64 s[14:15], s[0:1]
	s_mov_b32 s19, 0
	s_cbranch_execnz .LBB1_57
.LBB1_56:                               ;   in Loop: Header=BB1_41 Depth=1
	global_load_dwordx2 v[16:17], v1, s[0:1]
	s_add_i32 s19, s18, -8
.LBB1_57:                               ;   in Loop: Header=BB1_41 Depth=1
	s_add_u32 s0, s14, 8
	s_addc_u32 s1, s15, 0
	s_cmp_gt_u32 s19, 7
	s_cbranch_scc1 .LBB1_61
; %bb.58:                               ;   in Loop: Header=BB1_41 Depth=1
	s_cmp_eq_u32 s19, 0
	s_cbranch_scc1 .LBB1_62
; %bb.59:                               ;   in Loop: Header=BB1_41 Depth=1
	v_mov_b32_e32 v18, 0
	s_mov_b64 s[0:1], 0
	v_mov_b32_e32 v19, 0
	s_mov_b64 s[16:17], 0
.LBB1_60:                               ;   Parent Loop BB1_41 Depth=1
                                        ; =>  This Inner Loop Header: Depth=2
	s_add_u32 s20, s14, s16
	s_addc_u32 s21, s15, s17
	global_load_ubyte v0, v1, s[20:21]
	s_add_u32 s16, s16, 1
	s_addc_u32 s17, s17, 0
	s_waitcnt vmcnt(0)
	v_and_b32_e32 v0, 0xffff, v0
	v_lshlrev_b64 v[3:4], s0, v[0:1]
	s_add_u32 s0, s0, 8
	s_addc_u32 s1, s1, 0
	v_or_b32_e32 v18, v3, v18
	s_cmp_lg_u32 s19, s16
	v_or_b32_e32 v19, v4, v19
	s_cbranch_scc1 .LBB1_60
	s_branch .LBB1_63
.LBB1_61:                               ;   in Loop: Header=BB1_41 Depth=1
	s_mov_b32 s18, 0
	s_branch .LBB1_64
.LBB1_62:                               ;   in Loop: Header=BB1_41 Depth=1
	v_mov_b32_e32 v18, 0
	v_mov_b32_e32 v19, 0
.LBB1_63:                               ;   in Loop: Header=BB1_41 Depth=1
	s_mov_b64 s[0:1], s[14:15]
	s_mov_b32 s18, 0
	s_cbranch_execnz .LBB1_65
.LBB1_64:                               ;   in Loop: Header=BB1_41 Depth=1
	global_load_dwordx2 v[18:19], v1, s[14:15]
	s_add_i32 s18, s19, -8
.LBB1_65:                               ;   in Loop: Header=BB1_41 Depth=1
	s_add_u32 s14, s0, 8
	s_addc_u32 s15, s1, 0
	s_cmp_gt_u32 s18, 7
	s_cbranch_scc1 .LBB1_69
; %bb.66:                               ;   in Loop: Header=BB1_41 Depth=1
	s_cmp_eq_u32 s18, 0
	s_cbranch_scc1 .LBB1_70
; %bb.67:                               ;   in Loop: Header=BB1_41 Depth=1
	v_mov_b32_e32 v20, 0
	s_mov_b64 s[14:15], 0
	v_mov_b32_e32 v21, 0
	s_mov_b64 s[16:17], 0
.LBB1_68:                               ;   Parent Loop BB1_41 Depth=1
                                        ; =>  This Inner Loop Header: Depth=2
	s_add_u32 s20, s0, s16
	s_addc_u32 s21, s1, s17
	global_load_ubyte v0, v1, s[20:21]
	s_add_u32 s16, s16, 1
	s_addc_u32 s17, s17, 0
	s_waitcnt vmcnt(0)
	v_and_b32_e32 v0, 0xffff, v0
	v_lshlrev_b64 v[3:4], s14, v[0:1]
	s_add_u32 s14, s14, 8
	s_addc_u32 s15, s15, 0
	v_or_b32_e32 v20, v3, v20
	s_cmp_lg_u32 s18, s16
	v_or_b32_e32 v21, v4, v21
	s_cbranch_scc1 .LBB1_68
	s_branch .LBB1_71
.LBB1_69:                               ;   in Loop: Header=BB1_41 Depth=1
                                        ; implicit-def: $vgpr20_vgpr21
	s_mov_b32 s19, 0
	s_branch .LBB1_72
.LBB1_70:                               ;   in Loop: Header=BB1_41 Depth=1
	v_mov_b32_e32 v20, 0
	v_mov_b32_e32 v21, 0
.LBB1_71:                               ;   in Loop: Header=BB1_41 Depth=1
	s_mov_b64 s[14:15], s[0:1]
	s_mov_b32 s19, 0
	s_cbranch_execnz .LBB1_73
.LBB1_72:                               ;   in Loop: Header=BB1_41 Depth=1
	global_load_dwordx2 v[20:21], v1, s[0:1]
	s_add_i32 s19, s18, -8
.LBB1_73:                               ;   in Loop: Header=BB1_41 Depth=1
	s_add_u32 s0, s14, 8
	s_addc_u32 s1, s15, 0
	s_cmp_gt_u32 s19, 7
	s_cbranch_scc1 .LBB1_77
; %bb.74:                               ;   in Loop: Header=BB1_41 Depth=1
	s_cmp_eq_u32 s19, 0
	s_cbranch_scc1 .LBB1_78
; %bb.75:                               ;   in Loop: Header=BB1_41 Depth=1
	v_mov_b32_e32 v22, 0
	s_mov_b64 s[0:1], 0
	v_mov_b32_e32 v23, 0
	s_mov_b64 s[16:17], 0
.LBB1_76:                               ;   Parent Loop BB1_41 Depth=1
                                        ; =>  This Inner Loop Header: Depth=2
	s_add_u32 s20, s14, s16
	s_addc_u32 s21, s15, s17
	global_load_ubyte v0, v1, s[20:21]
	s_add_u32 s16, s16, 1
	s_addc_u32 s17, s17, 0
	s_waitcnt vmcnt(0)
	v_and_b32_e32 v0, 0xffff, v0
	v_lshlrev_b64 v[3:4], s0, v[0:1]
	s_add_u32 s0, s0, 8
	s_addc_u32 s1, s1, 0
	v_or_b32_e32 v22, v3, v22
	s_cmp_lg_u32 s19, s16
	v_or_b32_e32 v23, v4, v23
	s_cbranch_scc1 .LBB1_76
	s_branch .LBB1_79
.LBB1_77:                               ;   in Loop: Header=BB1_41 Depth=1
	s_mov_b32 s18, 0
	s_branch .LBB1_80
.LBB1_78:                               ;   in Loop: Header=BB1_41 Depth=1
	v_mov_b32_e32 v22, 0
	v_mov_b32_e32 v23, 0
.LBB1_79:                               ;   in Loop: Header=BB1_41 Depth=1
	s_mov_b64 s[0:1], s[14:15]
	s_mov_b32 s18, 0
	s_cbranch_execnz .LBB1_81
.LBB1_80:                               ;   in Loop: Header=BB1_41 Depth=1
	global_load_dwordx2 v[22:23], v1, s[14:15]
	s_add_i32 s18, s19, -8
.LBB1_81:                               ;   in Loop: Header=BB1_41 Depth=1
	s_add_u32 s14, s0, 8
	s_addc_u32 s15, s1, 0
	s_cmp_gt_u32 s18, 7
	s_cbranch_scc1 .LBB1_85
; %bb.82:                               ;   in Loop: Header=BB1_41 Depth=1
	s_cmp_eq_u32 s18, 0
	s_cbranch_scc1 .LBB1_86
; %bb.83:                               ;   in Loop: Header=BB1_41 Depth=1
	v_mov_b32_e32 v24, 0
	s_mov_b64 s[14:15], 0
	v_mov_b32_e32 v25, 0
	s_mov_b64 s[16:17], 0
.LBB1_84:                               ;   Parent Loop BB1_41 Depth=1
                                        ; =>  This Inner Loop Header: Depth=2
	s_add_u32 s20, s0, s16
	s_addc_u32 s21, s1, s17
	global_load_ubyte v0, v1, s[20:21]
	s_add_u32 s16, s16, 1
	s_addc_u32 s17, s17, 0
	s_waitcnt vmcnt(0)
	v_and_b32_e32 v0, 0xffff, v0
	v_lshlrev_b64 v[3:4], s14, v[0:1]
	s_add_u32 s14, s14, 8
	s_addc_u32 s15, s15, 0
	v_or_b32_e32 v24, v3, v24
	s_cmp_lg_u32 s18, s16
	v_or_b32_e32 v25, v4, v25
	s_cbranch_scc1 .LBB1_84
	s_branch .LBB1_87
.LBB1_85:                               ;   in Loop: Header=BB1_41 Depth=1
                                        ; implicit-def: $vgpr24_vgpr25
	s_mov_b32 s19, 0
	s_branch .LBB1_88
.LBB1_86:                               ;   in Loop: Header=BB1_41 Depth=1
	v_mov_b32_e32 v24, 0
	v_mov_b32_e32 v25, 0
.LBB1_87:                               ;   in Loop: Header=BB1_41 Depth=1
	s_mov_b64 s[14:15], s[0:1]
	s_mov_b32 s19, 0
	s_cbranch_execnz .LBB1_89
.LBB1_88:                               ;   in Loop: Header=BB1_41 Depth=1
	global_load_dwordx2 v[24:25], v1, s[0:1]
	s_add_i32 s19, s18, -8
.LBB1_89:                               ;   in Loop: Header=BB1_41 Depth=1
	s_cmp_gt_u32 s19, 7
	s_cbranch_scc1 .LBB1_93
; %bb.90:                               ;   in Loop: Header=BB1_41 Depth=1
	s_cmp_eq_u32 s19, 0
	s_cbranch_scc1 .LBB1_94
; %bb.91:                               ;   in Loop: Header=BB1_41 Depth=1
	v_mov_b32_e32 v26, 0
	s_mov_b64 s[0:1], 0
	v_mov_b32_e32 v27, 0
	s_mov_b64 s[16:17], s[14:15]
.LBB1_92:                               ;   Parent Loop BB1_41 Depth=1
                                        ; =>  This Inner Loop Header: Depth=2
	global_load_ubyte v0, v1, s[16:17]
	s_add_i32 s19, s19, -1
	s_waitcnt vmcnt(0)
	v_and_b32_e32 v0, 0xffff, v0
	v_lshlrev_b64 v[3:4], s0, v[0:1]
	s_add_u32 s0, s0, 8
	s_addc_u32 s1, s1, 0
	s_add_u32 s16, s16, 1
	s_addc_u32 s17, s17, 0
	v_or_b32_e32 v26, v3, v26
	s_cmp_lg_u32 s19, 0
	v_or_b32_e32 v27, v4, v27
	s_cbranch_scc1 .LBB1_92
	s_branch .LBB1_95
.LBB1_93:                               ;   in Loop: Header=BB1_41 Depth=1
	s_branch .LBB1_96
.LBB1_94:                               ;   in Loop: Header=BB1_41 Depth=1
	v_mov_b32_e32 v26, 0
	v_mov_b32_e32 v27, 0
.LBB1_95:                               ;   in Loop: Header=BB1_41 Depth=1
	s_cbranch_execnz .LBB1_97
.LBB1_96:                               ;   in Loop: Header=BB1_41 Depth=1
	global_load_dwordx2 v[26:27], v1, s[14:15]
.LBB1_97:                               ;   in Loop: Header=BB1_41 Depth=1
	v_readfirstlane_b32 s0, v33
	v_mov_b32_e32 v3, 0
	v_mov_b32_e32 v4, 0
	v_cmp_eq_u32_e64 s[0:1], s0, v33
	s_and_saveexec_b64 s[14:15], s[0:1]
	s_cbranch_execz .LBB1_103
; %bb.98:                               ;   in Loop: Header=BB1_41 Depth=1
	global_load_dwordx2 v[30:31], v1, s[4:5] offset:24 glc
	s_waitcnt vmcnt(0)
	buffer_wbinvl1_vol
	global_load_dwordx2 v[3:4], v1, s[4:5] offset:40
	global_load_dwordx2 v[12:13], v1, s[4:5]
	s_waitcnt vmcnt(1)
	v_and_b32_e32 v0, v3, v30
	v_and_b32_e32 v3, v4, v31
	v_mul_lo_u32 v3, v3, 24
	v_mul_hi_u32 v4, v0, 24
	v_mul_lo_u32 v0, v0, 24
	v_add_u32_e32 v4, v4, v3
	s_waitcnt vmcnt(0)
	v_add_co_u32_e32 v3, vcc, v12, v0
	v_addc_co_u32_e32 v4, vcc, v13, v4, vcc
	global_load_dwordx2 v[28:29], v[3:4], off glc
	s_waitcnt vmcnt(0)
	global_atomic_cmpswap_x2 v[3:4], v1, v[28:31], s[4:5] offset:24 glc
	s_waitcnt vmcnt(0)
	buffer_wbinvl1_vol
	v_cmp_ne_u64_e32 vcc, v[3:4], v[30:31]
	s_and_saveexec_b64 s[16:17], vcc
	s_cbranch_execz .LBB1_102
; %bb.99:                               ;   in Loop: Header=BB1_41 Depth=1
	s_mov_b64 s[18:19], 0
.LBB1_100:                              ;   Parent Loop BB1_41 Depth=1
                                        ; =>  This Inner Loop Header: Depth=2
	s_sleep 1
	global_load_dwordx2 v[12:13], v1, s[4:5] offset:40
	global_load_dwordx2 v[28:29], v1, s[4:5]
	v_mov_b32_e32 v31, v4
	v_mov_b32_e32 v30, v3
	s_waitcnt vmcnt(1)
	v_and_b32_e32 v0, v12, v30
	s_waitcnt vmcnt(0)
	v_mad_u64_u32 v[3:4], s[20:21], v0, 24, v[28:29]
	v_and_b32_e32 v12, v13, v31
	v_mov_b32_e32 v0, v4
	v_mad_u64_u32 v[12:13], s[20:21], v12, 24, v[0:1]
	v_mov_b32_e32 v4, v12
	global_load_dwordx2 v[28:29], v[3:4], off glc
	s_waitcnt vmcnt(0)
	global_atomic_cmpswap_x2 v[3:4], v1, v[28:31], s[4:5] offset:24 glc
	s_waitcnt vmcnt(0)
	buffer_wbinvl1_vol
	v_cmp_eq_u64_e32 vcc, v[3:4], v[30:31]
	s_or_b64 s[18:19], vcc, s[18:19]
	s_andn2_b64 exec, exec, s[18:19]
	s_cbranch_execnz .LBB1_100
; %bb.101:                              ;   in Loop: Header=BB1_41 Depth=1
	s_or_b64 exec, exec, s[18:19]
.LBB1_102:                              ;   in Loop: Header=BB1_41 Depth=1
	s_or_b64 exec, exec, s[16:17]
.LBB1_103:                              ;   in Loop: Header=BB1_41 Depth=1
	s_or_b64 exec, exec, s[14:15]
	global_load_dwordx2 v[12:13], v1, s[4:5] offset:40
	global_load_dwordx4 v[28:31], v1, s[4:5]
	v_readfirstlane_b32 s15, v4
	v_readfirstlane_b32 s14, v3
	s_mov_b64 s[16:17], exec
	s_waitcnt vmcnt(1)
	v_readfirstlane_b32 s18, v12
	v_readfirstlane_b32 s19, v13
	s_and_b64 s[18:19], s[18:19], s[14:15]
	s_mul_i32 s20, s19, 24
	s_mul_hi_u32 s21, s18, 24
	s_mul_i32 s22, s18, 24
	s_add_i32 s20, s21, s20
	v_mov_b32_e32 v0, s20
	s_waitcnt vmcnt(0)
	v_add_co_u32_e32 v3, vcc, s22, v28
	v_addc_co_u32_e32 v4, vcc, v29, v0, vcc
	s_and_saveexec_b64 s[20:21], s[0:1]
	s_cbranch_execz .LBB1_105
; %bb.104:                              ;   in Loop: Header=BB1_41 Depth=1
	v_mov_b32_e32 v12, s16
	v_mov_b32_e32 v13, s17
	global_store_dwordx4 v[3:4], v[12:15], off offset:8
.LBB1_105:                              ;   in Loop: Header=BB1_41 Depth=1
	s_or_b64 exec, exec, s[20:21]
	s_lshl_b64 s[16:17], s[18:19], 12
	v_mov_b32_e32 v0, s17
	v_add_co_u32_e32 v30, vcc, s16, v30
	v_addc_co_u32_e32 v31, vcc, v31, v0, vcc
	v_cmp_lt_u64_e64 vcc, s[10:11], 57
	s_lshl_b32 s16, s12, 2
	v_cndmask_b32_e32 v0, 0, v35, vcc
	s_add_i32 s16, s16, 28
	v_and_b32_e32 v8, 0xffffff1f, v8
	s_and_b32 s16, s16, 0x1e0
	v_or_b32_e32 v0, v8, v0
	v_or_b32_e32 v8, s16, v0
	v_readfirstlane_b32 s16, v30
	v_readfirstlane_b32 s17, v31
	s_nop 4
	global_store_dwordx4 v32, v[8:11], s[16:17]
	global_store_dwordx4 v32, v[16:19], s[16:17] offset:16
	global_store_dwordx4 v32, v[20:23], s[16:17] offset:32
	;; [unrolled: 1-line block ×3, first 2 shown]
	s_and_saveexec_b64 s[16:17], s[0:1]
	s_cbranch_execz .LBB1_113
; %bb.106:                              ;   in Loop: Header=BB1_41 Depth=1
	global_load_dwordx2 v[18:19], v1, s[4:5] offset:32 glc
	global_load_dwordx2 v[8:9], v1, s[4:5] offset:40
	v_mov_b32_e32 v16, s14
	v_mov_b32_e32 v17, s15
	s_waitcnt vmcnt(0)
	v_readfirstlane_b32 s18, v8
	v_readfirstlane_b32 s19, v9
	s_and_b64 s[18:19], s[18:19], s[14:15]
	s_mul_i32 s19, s19, 24
	s_mul_hi_u32 s20, s18, 24
	s_mul_i32 s18, s18, 24
	s_add_i32 s19, s20, s19
	v_mov_b32_e32 v0, s19
	v_add_co_u32_e32 v12, vcc, s18, v28
	v_addc_co_u32_e32 v13, vcc, v29, v0, vcc
	global_store_dwordx2 v[12:13], v[18:19], off
	s_waitcnt vmcnt(0)
	global_atomic_cmpswap_x2 v[10:11], v1, v[16:19], s[4:5] offset:32 glc
	s_waitcnt vmcnt(0)
	v_cmp_ne_u64_e32 vcc, v[10:11], v[18:19]
	s_and_saveexec_b64 s[18:19], vcc
	s_cbranch_execz .LBB1_109
; %bb.107:                              ;   in Loop: Header=BB1_41 Depth=1
	s_mov_b64 s[20:21], 0
.LBB1_108:                              ;   Parent Loop BB1_41 Depth=1
                                        ; =>  This Inner Loop Header: Depth=2
	s_sleep 1
	global_store_dwordx2 v[12:13], v[10:11], off
	v_mov_b32_e32 v8, s14
	v_mov_b32_e32 v9, s15
	s_waitcnt vmcnt(0)
	global_atomic_cmpswap_x2 v[8:9], v1, v[8:11], s[4:5] offset:32 glc
	s_waitcnt vmcnt(0)
	v_cmp_eq_u64_e32 vcc, v[8:9], v[10:11]
	v_mov_b32_e32 v11, v9
	s_or_b64 s[20:21], vcc, s[20:21]
	v_mov_b32_e32 v10, v8
	s_andn2_b64 exec, exec, s[20:21]
	s_cbranch_execnz .LBB1_108
.LBB1_109:                              ;   in Loop: Header=BB1_41 Depth=1
	s_or_b64 exec, exec, s[18:19]
	global_load_dwordx2 v[8:9], v1, s[4:5] offset:16
	s_mov_b64 s[20:21], exec
	v_mbcnt_lo_u32_b32 v0, s20, 0
	v_mbcnt_hi_u32_b32 v0, s21, v0
	v_cmp_eq_u32_e32 vcc, 0, v0
	s_and_saveexec_b64 s[18:19], vcc
	s_cbranch_execz .LBB1_111
; %bb.110:                              ;   in Loop: Header=BB1_41 Depth=1
	s_bcnt1_i32_b64 s20, s[20:21]
	v_mov_b32_e32 v0, s20
	s_waitcnt vmcnt(0)
	global_atomic_add_x2 v[8:9], v[0:1], off offset:8
.LBB1_111:                              ;   in Loop: Header=BB1_41 Depth=1
	s_or_b64 exec, exec, s[18:19]
	s_waitcnt vmcnt(0)
	global_load_dwordx2 v[10:11], v[8:9], off offset:16
	s_waitcnt vmcnt(0)
	v_cmp_eq_u64_e32 vcc, 0, v[10:11]
	s_cbranch_vccnz .LBB1_113
; %bb.112:                              ;   in Loop: Header=BB1_41 Depth=1
	global_load_dword v0, v[8:9], off offset:24
	s_waitcnt vmcnt(0)
	v_readfirstlane_b32 s18, v0
	s_and_b32 m0, s18, 0xffffff
	global_store_dwordx2 v[10:11], v[0:1], off
	s_sendmsg sendmsg(MSG_INTERRUPT)
.LBB1_113:                              ;   in Loop: Header=BB1_41 Depth=1
	s_or_b64 exec, exec, s[16:17]
	v_add_co_u32_e32 v8, vcc, v30, v32
	v_addc_co_u32_e32 v9, vcc, 0, v31, vcc
	s_branch .LBB1_117
.LBB1_114:                              ;   in Loop: Header=BB1_117 Depth=2
	s_or_b64 exec, exec, s[16:17]
	v_readfirstlane_b32 s16, v0
	s_cmp_eq_u32 s16, 0
	s_cbranch_scc1 .LBB1_116
; %bb.115:                              ;   in Loop: Header=BB1_117 Depth=2
	s_sleep 1
	s_cbranch_execnz .LBB1_117
	s_branch .LBB1_119
.LBB1_116:                              ;   in Loop: Header=BB1_41 Depth=1
	s_branch .LBB1_119
.LBB1_117:                              ;   Parent Loop BB1_41 Depth=1
                                        ; =>  This Inner Loop Header: Depth=2
	v_mov_b32_e32 v0, 1
	s_and_saveexec_b64 s[16:17], s[0:1]
	s_cbranch_execz .LBB1_114
; %bb.118:                              ;   in Loop: Header=BB1_117 Depth=2
	global_load_dword v0, v[3:4], off offset:20 glc
	s_waitcnt vmcnt(0)
	buffer_wbinvl1_vol
	v_and_b32_e32 v0, 1, v0
	s_branch .LBB1_114
.LBB1_119:                              ;   in Loop: Header=BB1_41 Depth=1
	global_load_dwordx2 v[8:9], v[8:9], off
	s_and_saveexec_b64 s[16:17], s[0:1]
	s_cbranch_execz .LBB1_40
; %bb.120:                              ;   in Loop: Header=BB1_41 Depth=1
	global_load_dwordx2 v[3:4], v1, s[4:5] offset:40
	global_load_dwordx2 v[18:19], v1, s[4:5] offset:24 glc
	global_load_dwordx2 v[10:11], v1, s[4:5]
	s_waitcnt vmcnt(2)
	v_readfirstlane_b32 s18, v3
	v_readfirstlane_b32 s19, v4
	s_add_u32 s20, s18, 1
	s_addc_u32 s21, s19, 0
	s_add_u32 s0, s20, s14
	s_addc_u32 s1, s21, s15
	s_cmp_eq_u64 s[0:1], 0
	s_cselect_b32 s1, s21, s1
	s_cselect_b32 s0, s20, s0
	s_and_b64 s[14:15], s[0:1], s[18:19]
	s_mul_i32 s15, s15, 24
	s_mul_hi_u32 s18, s14, 24
	s_mul_i32 s14, s14, 24
	s_add_i32 s15, s18, s15
	v_mov_b32_e32 v0, s15
	s_waitcnt vmcnt(0)
	v_add_co_u32_e32 v3, vcc, s14, v10
	v_addc_co_u32_e32 v4, vcc, v11, v0, vcc
	v_mov_b32_e32 v16, s0
	global_store_dwordx2 v[3:4], v[18:19], off
	v_mov_b32_e32 v17, s1
	s_waitcnt vmcnt(0)
	global_atomic_cmpswap_x2 v[12:13], v1, v[16:19], s[4:5] offset:24 glc
	s_waitcnt vmcnt(0)
	v_cmp_ne_u64_e32 vcc, v[12:13], v[18:19]
	s_and_b64 exec, exec, vcc
	s_cbranch_execz .LBB1_40
; %bb.121:                              ;   in Loop: Header=BB1_41 Depth=1
	s_mov_b64 s[14:15], 0
.LBB1_122:                              ;   Parent Loop BB1_41 Depth=1
                                        ; =>  This Inner Loop Header: Depth=2
	s_sleep 1
	global_store_dwordx2 v[3:4], v[12:13], off
	v_mov_b32_e32 v10, s0
	v_mov_b32_e32 v11, s1
	s_waitcnt vmcnt(0)
	global_atomic_cmpswap_x2 v[10:11], v1, v[10:13], s[4:5] offset:24 glc
	s_waitcnt vmcnt(0)
	v_cmp_eq_u64_e32 vcc, v[10:11], v[12:13]
	v_mov_b32_e32 v13, v11
	s_or_b64 s[14:15], vcc, s[14:15]
	v_mov_b32_e32 v12, v10
	s_andn2_b64 exec, exec, s[14:15]
	s_cbranch_execnz .LBB1_122
	s_branch .LBB1_40
.LBB1_123:
	s_mov_b64 s[0:1], 0
	s_branch .LBB1_125
.LBB1_124:
	s_mov_b64 s[0:1], -1
                                        ; implicit-def: $vgpr8_vgpr9
.LBB1_125:
	s_and_b64 vcc, exec, s[0:1]
	s_cbranch_vccz .LBB1_152
; %bb.126:
	v_readfirstlane_b32 s0, v33
	v_mov_b32_e32 v0, 0
	v_mov_b32_e32 v1, 0
	v_cmp_eq_u32_e64 s[0:1], s0, v33
	s_and_saveexec_b64 s[8:9], s[0:1]
	s_cbranch_execz .LBB1_132
; %bb.127:
	v_mov_b32_e32 v3, 0
	global_load_dwordx2 v[10:11], v3, s[4:5] offset:24 glc
	s_waitcnt vmcnt(0)
	buffer_wbinvl1_vol
	global_load_dwordx2 v[0:1], v3, s[4:5] offset:40
	global_load_dwordx2 v[8:9], v3, s[4:5]
	s_waitcnt vmcnt(1)
	v_and_b32_e32 v0, v0, v10
	v_and_b32_e32 v1, v1, v11
	v_mul_lo_u32 v1, v1, 24
	v_mul_hi_u32 v4, v0, 24
	v_mul_lo_u32 v0, v0, 24
	v_add_u32_e32 v1, v4, v1
	s_waitcnt vmcnt(0)
	v_add_co_u32_e32 v0, vcc, v8, v0
	v_addc_co_u32_e32 v1, vcc, v9, v1, vcc
	global_load_dwordx2 v[8:9], v[0:1], off glc
	s_waitcnt vmcnt(0)
	global_atomic_cmpswap_x2 v[0:1], v3, v[8:11], s[4:5] offset:24 glc
	s_waitcnt vmcnt(0)
	buffer_wbinvl1_vol
	v_cmp_ne_u64_e32 vcc, v[0:1], v[10:11]
	s_and_saveexec_b64 s[10:11], vcc
	s_cbranch_execz .LBB1_131
; %bb.128:
	s_mov_b64 s[12:13], 0
.LBB1_129:                              ; =>This Inner Loop Header: Depth=1
	s_sleep 1
	global_load_dwordx2 v[8:9], v3, s[4:5] offset:40
	global_load_dwordx2 v[12:13], v3, s[4:5]
	v_mov_b32_e32 v11, v1
	v_mov_b32_e32 v10, v0
	s_waitcnt vmcnt(1)
	v_and_b32_e32 v0, v8, v10
	s_waitcnt vmcnt(0)
	v_mad_u64_u32 v[0:1], s[14:15], v0, 24, v[12:13]
	v_and_b32_e32 v4, v9, v11
	v_mad_u64_u32 v[8:9], s[14:15], v4, 24, v[1:2]
	v_mov_b32_e32 v1, v8
	global_load_dwordx2 v[8:9], v[0:1], off glc
	s_waitcnt vmcnt(0)
	global_atomic_cmpswap_x2 v[0:1], v3, v[8:11], s[4:5] offset:24 glc
	s_waitcnt vmcnt(0)
	buffer_wbinvl1_vol
	v_cmp_eq_u64_e32 vcc, v[0:1], v[10:11]
	s_or_b64 s[12:13], vcc, s[12:13]
	s_andn2_b64 exec, exec, s[12:13]
	s_cbranch_execnz .LBB1_129
; %bb.130:
	s_or_b64 exec, exec, s[12:13]
.LBB1_131:
	s_or_b64 exec, exec, s[10:11]
.LBB1_132:
	s_or_b64 exec, exec, s[8:9]
	s_waitcnt vmcnt(0)
	v_mov_b32_e32 v8, 0
	global_load_dwordx2 v[3:4], v8, s[4:5] offset:40
	global_load_dwordx4 v[10:13], v8, s[4:5]
	v_readfirstlane_b32 s9, v1
	v_readfirstlane_b32 s8, v0
	s_mov_b64 s[10:11], exec
	s_waitcnt vmcnt(1)
	v_readfirstlane_b32 s12, v3
	v_readfirstlane_b32 s13, v4
	s_and_b64 s[12:13], s[12:13], s[8:9]
	s_mul_i32 s14, s13, 24
	s_mul_hi_u32 s15, s12, 24
	s_mul_i32 s16, s12, 24
	s_add_i32 s14, s15, s14
	v_mov_b32_e32 v1, s14
	s_waitcnt vmcnt(0)
	v_add_co_u32_e32 v0, vcc, s16, v10
	v_addc_co_u32_e32 v1, vcc, v11, v1, vcc
	s_and_saveexec_b64 s[14:15], s[0:1]
	s_cbranch_execz .LBB1_134
; %bb.133:
	v_mov_b32_e32 v15, s11
	v_mov_b32_e32 v14, s10
	;; [unrolled: 1-line block ×4, first 2 shown]
	global_store_dwordx4 v[0:1], v[14:17], off offset:8
.LBB1_134:
	s_or_b64 exec, exec, s[14:15]
	s_lshl_b64 s[10:11], s[12:13], 12
	v_mov_b32_e32 v3, s11
	v_add_co_u32_e32 v12, vcc, s10, v12
	v_addc_co_u32_e32 v13, vcc, v13, v3, vcc
	s_movk_i32 s10, 0xff1f
	v_and_or_b32 v6, v6, s10, 32
	s_mov_b32 s12, 0
	v_mov_b32_e32 v9, v8
	v_readfirstlane_b32 s10, v12
	v_readfirstlane_b32 s11, v13
	v_add_co_u32_e32 v3, vcc, v12, v32
	s_mov_b32 s13, s12
	s_mov_b32 s14, s12
	;; [unrolled: 1-line block ×3, first 2 shown]
	s_nop 0
	global_store_dwordx4 v32, v[6:9], s[10:11]
	v_addc_co_u32_e32 v4, vcc, 0, v13, vcc
	v_mov_b32_e32 v6, s12
	v_mov_b32_e32 v7, s13
	v_mov_b32_e32 v8, s14
	v_mov_b32_e32 v9, s15
	global_store_dwordx4 v32, v[6:9], s[10:11] offset:16
	global_store_dwordx4 v32, v[6:9], s[10:11] offset:32
	;; [unrolled: 1-line block ×3, first 2 shown]
	s_and_saveexec_b64 s[10:11], s[0:1]
	s_cbranch_execz .LBB1_142
; %bb.135:
	v_mov_b32_e32 v12, 0
	global_load_dwordx2 v[15:16], v12, s[4:5] offset:32 glc
	global_load_dwordx2 v[6:7], v12, s[4:5] offset:40
	v_mov_b32_e32 v13, s8
	v_mov_b32_e32 v14, s9
	s_waitcnt vmcnt(0)
	v_readfirstlane_b32 s12, v6
	v_readfirstlane_b32 s13, v7
	s_and_b64 s[12:13], s[12:13], s[8:9]
	s_mul_i32 s13, s13, 24
	s_mul_hi_u32 s14, s12, 24
	s_mul_i32 s12, s12, 24
	s_add_i32 s13, s14, s13
	v_mov_b32_e32 v6, s13
	v_add_co_u32_e32 v10, vcc, s12, v10
	v_addc_co_u32_e32 v11, vcc, v11, v6, vcc
	global_store_dwordx2 v[10:11], v[15:16], off
	s_waitcnt vmcnt(0)
	global_atomic_cmpswap_x2 v[8:9], v12, v[13:16], s[4:5] offset:32 glc
	s_waitcnt vmcnt(0)
	v_cmp_ne_u64_e32 vcc, v[8:9], v[15:16]
	s_and_saveexec_b64 s[12:13], vcc
	s_cbranch_execz .LBB1_138
; %bb.136:
	s_mov_b64 s[14:15], 0
.LBB1_137:                              ; =>This Inner Loop Header: Depth=1
	s_sleep 1
	global_store_dwordx2 v[10:11], v[8:9], off
	v_mov_b32_e32 v6, s8
	v_mov_b32_e32 v7, s9
	s_waitcnt vmcnt(0)
	global_atomic_cmpswap_x2 v[6:7], v12, v[6:9], s[4:5] offset:32 glc
	s_waitcnt vmcnt(0)
	v_cmp_eq_u64_e32 vcc, v[6:7], v[8:9]
	v_mov_b32_e32 v9, v7
	s_or_b64 s[14:15], vcc, s[14:15]
	v_mov_b32_e32 v8, v6
	s_andn2_b64 exec, exec, s[14:15]
	s_cbranch_execnz .LBB1_137
.LBB1_138:
	s_or_b64 exec, exec, s[12:13]
	v_mov_b32_e32 v9, 0
	global_load_dwordx2 v[6:7], v9, s[4:5] offset:16
	s_mov_b64 s[12:13], exec
	v_mbcnt_lo_u32_b32 v8, s12, 0
	v_mbcnt_hi_u32_b32 v8, s13, v8
	v_cmp_eq_u32_e32 vcc, 0, v8
	s_and_saveexec_b64 s[14:15], vcc
	s_cbranch_execz .LBB1_140
; %bb.139:
	s_bcnt1_i32_b64 s12, s[12:13]
	v_mov_b32_e32 v8, s12
	s_waitcnt vmcnt(0)
	global_atomic_add_x2 v[6:7], v[8:9], off offset:8
.LBB1_140:
	s_or_b64 exec, exec, s[14:15]
	s_waitcnt vmcnt(0)
	global_load_dwordx2 v[8:9], v[6:7], off offset:16
	s_waitcnt vmcnt(0)
	v_cmp_eq_u64_e32 vcc, 0, v[8:9]
	s_cbranch_vccnz .LBB1_142
; %bb.141:
	global_load_dword v6, v[6:7], off offset:24
	v_mov_b32_e32 v7, 0
	s_waitcnt vmcnt(0)
	v_readfirstlane_b32 s12, v6
	s_and_b32 m0, s12, 0xffffff
	global_store_dwordx2 v[8:9], v[6:7], off
	s_sendmsg sendmsg(MSG_INTERRUPT)
.LBB1_142:
	s_or_b64 exec, exec, s[10:11]
	s_branch .LBB1_146
.LBB1_143:                              ;   in Loop: Header=BB1_146 Depth=1
	s_or_b64 exec, exec, s[10:11]
	v_readfirstlane_b32 s10, v6
	s_cmp_eq_u32 s10, 0
	s_cbranch_scc1 .LBB1_145
; %bb.144:                              ;   in Loop: Header=BB1_146 Depth=1
	s_sleep 1
	s_cbranch_execnz .LBB1_146
	s_branch .LBB1_148
.LBB1_145:
	s_branch .LBB1_148
.LBB1_146:                              ; =>This Inner Loop Header: Depth=1
	v_mov_b32_e32 v6, 1
	s_and_saveexec_b64 s[10:11], s[0:1]
	s_cbranch_execz .LBB1_143
; %bb.147:                              ;   in Loop: Header=BB1_146 Depth=1
	global_load_dword v6, v[0:1], off offset:20 glc
	s_waitcnt vmcnt(0)
	buffer_wbinvl1_vol
	v_and_b32_e32 v6, 1, v6
	s_branch .LBB1_143
.LBB1_148:
	global_load_dwordx2 v[8:9], v[3:4], off
	s_and_saveexec_b64 s[10:11], s[0:1]
	s_cbranch_execz .LBB1_151
; %bb.149:
	v_mov_b32_e32 v3, 0
	global_load_dwordx2 v[0:1], v3, s[4:5] offset:40
	global_load_dwordx2 v[14:15], v3, s[4:5] offset:24 glc
	global_load_dwordx2 v[6:7], v3, s[4:5]
	s_waitcnt vmcnt(2)
	v_readfirstlane_b32 s12, v0
	v_readfirstlane_b32 s13, v1
	s_add_u32 s14, s12, 1
	s_addc_u32 s15, s13, 0
	s_add_u32 s0, s14, s8
	s_addc_u32 s1, s15, s9
	s_cmp_eq_u64 s[0:1], 0
	s_cselect_b32 s1, s15, s1
	s_cselect_b32 s0, s14, s0
	s_and_b64 s[8:9], s[0:1], s[12:13]
	s_mul_i32 s9, s9, 24
	s_mul_hi_u32 s12, s8, 24
	s_mul_i32 s8, s8, 24
	s_add_i32 s9, s12, s9
	v_mov_b32_e32 v1, s9
	s_waitcnt vmcnt(0)
	v_add_co_u32_e32 v0, vcc, s8, v6
	v_addc_co_u32_e32 v1, vcc, v7, v1, vcc
	v_mov_b32_e32 v12, s0
	global_store_dwordx2 v[0:1], v[14:15], off
	v_mov_b32_e32 v13, s1
	s_waitcnt vmcnt(0)
	global_atomic_cmpswap_x2 v[12:13], v3, v[12:15], s[4:5] offset:24 glc
	s_mov_b64 s[8:9], 0
	s_waitcnt vmcnt(0)
	v_cmp_ne_u64_e32 vcc, v[12:13], v[14:15]
	s_and_b64 exec, exec, vcc
	s_cbranch_execz .LBB1_151
.LBB1_150:                              ; =>This Inner Loop Header: Depth=1
	s_sleep 1
	global_store_dwordx2 v[0:1], v[12:13], off
	v_mov_b32_e32 v10, s0
	v_mov_b32_e32 v11, s1
	s_waitcnt vmcnt(0)
	global_atomic_cmpswap_x2 v[6:7], v3, v[10:13], s[4:5] offset:24 glc
	s_waitcnt vmcnt(0)
	v_cmp_eq_u64_e32 vcc, v[6:7], v[12:13]
	v_mov_b32_e32 v13, v7
	s_or_b64 s[8:9], vcc, s[8:9]
	v_mov_b32_e32 v12, v6
	s_andn2_b64 exec, exec, s[8:9]
	s_cbranch_execnz .LBB1_150
.LBB1_151:
	s_or_b64 exec, exec, s[10:11]
.LBB1_152:
	v_readfirstlane_b32 s0, v33
	v_mov_b32_e32 v0, 0
	v_mov_b32_e32 v1, 0
	v_cmp_eq_u32_e64 s[0:1], s0, v33
	s_and_saveexec_b64 s[8:9], s[0:1]
	s_cbranch_execz .LBB1_158
; %bb.153:
	v_mov_b32_e32 v3, 0
	global_load_dwordx2 v[12:13], v3, s[4:5] offset:24 glc
	s_waitcnt vmcnt(0)
	buffer_wbinvl1_vol
	global_load_dwordx2 v[0:1], v3, s[4:5] offset:40
	global_load_dwordx2 v[6:7], v3, s[4:5]
	s_waitcnt vmcnt(1)
	v_and_b32_e32 v0, v0, v12
	v_and_b32_e32 v1, v1, v13
	v_mul_lo_u32 v1, v1, 24
	v_mul_hi_u32 v4, v0, 24
	v_mul_lo_u32 v0, v0, 24
	v_add_u32_e32 v1, v4, v1
	s_waitcnt vmcnt(0)
	v_add_co_u32_e32 v0, vcc, v6, v0
	v_addc_co_u32_e32 v1, vcc, v7, v1, vcc
	global_load_dwordx2 v[10:11], v[0:1], off glc
	s_waitcnt vmcnt(0)
	global_atomic_cmpswap_x2 v[0:1], v3, v[10:13], s[4:5] offset:24 glc
	s_waitcnt vmcnt(0)
	buffer_wbinvl1_vol
	v_cmp_ne_u64_e32 vcc, v[0:1], v[12:13]
	s_and_saveexec_b64 s[10:11], vcc
	s_cbranch_execz .LBB1_157
; %bb.154:
	s_mov_b64 s[12:13], 0
.LBB1_155:                              ; =>This Inner Loop Header: Depth=1
	s_sleep 1
	global_load_dwordx2 v[6:7], v3, s[4:5] offset:40
	global_load_dwordx2 v[10:11], v3, s[4:5]
	v_mov_b32_e32 v13, v1
	v_mov_b32_e32 v12, v0
	s_waitcnt vmcnt(1)
	v_and_b32_e32 v0, v6, v12
	s_waitcnt vmcnt(0)
	v_mad_u64_u32 v[0:1], s[14:15], v0, 24, v[10:11]
	v_and_b32_e32 v4, v7, v13
	v_mad_u64_u32 v[6:7], s[14:15], v4, 24, v[1:2]
	v_mov_b32_e32 v1, v6
	global_load_dwordx2 v[10:11], v[0:1], off glc
	s_waitcnt vmcnt(0)
	global_atomic_cmpswap_x2 v[0:1], v3, v[10:13], s[4:5] offset:24 glc
	s_waitcnt vmcnt(0)
	buffer_wbinvl1_vol
	v_cmp_eq_u64_e32 vcc, v[0:1], v[12:13]
	s_or_b64 s[12:13], vcc, s[12:13]
	s_andn2_b64 exec, exec, s[12:13]
	s_cbranch_execnz .LBB1_155
; %bb.156:
	s_or_b64 exec, exec, s[12:13]
.LBB1_157:
	s_or_b64 exec, exec, s[10:11]
.LBB1_158:
	s_or_b64 exec, exec, s[8:9]
	v_mov_b32_e32 v11, 0
	global_load_dwordx2 v[3:4], v11, s[4:5] offset:40
	global_load_dwordx4 v[12:15], v11, s[4:5]
	v_readfirstlane_b32 s9, v1
	v_readfirstlane_b32 s8, v0
	s_mov_b64 s[10:11], exec
	s_waitcnt vmcnt(1)
	v_readfirstlane_b32 s12, v3
	v_readfirstlane_b32 s13, v4
	s_and_b64 s[12:13], s[12:13], s[8:9]
	s_mul_i32 s14, s13, 24
	s_mul_hi_u32 s15, s12, 24
	s_mul_i32 s16, s12, 24
	s_add_i32 s14, s15, s14
	v_mov_b32_e32 v1, s14
	s_waitcnt vmcnt(0)
	v_add_co_u32_e32 v0, vcc, s16, v12
	v_addc_co_u32_e32 v1, vcc, v13, v1, vcc
	s_and_saveexec_b64 s[14:15], s[0:1]
	s_cbranch_execz .LBB1_160
; %bb.159:
	v_mov_b32_e32 v17, s11
	v_mov_b32_e32 v16, s10
	;; [unrolled: 1-line block ×4, first 2 shown]
	global_store_dwordx4 v[0:1], v[16:19], off offset:8
.LBB1_160:
	s_or_b64 exec, exec, s[14:15]
	s_lshl_b64 s[10:11], s[12:13], 12
	v_mov_b32_e32 v3, s11
	v_add_co_u32_e32 v6, vcc, s10, v14
	v_addc_co_u32_e32 v7, vcc, v15, v3, vcc
	s_movk_i32 s10, 0xff1f
	v_and_or_b32 v8, v8, s10, 32
	v_add_co_u32_e32 v3, vcc, v6, v32
	v_mov_b32_e32 v10, v34
	v_readfirstlane_b32 s10, v6
	v_readfirstlane_b32 s11, v7
	s_mov_b32 s12, 0
	v_addc_co_u32_e32 v4, vcc, 0, v7, vcc
	s_mov_b32 s13, s12
	s_mov_b32 s14, s12
	s_nop 0
	global_store_dwordx4 v32, v[8:11], s[10:11]
	s_mov_b32 s15, s12
	v_mov_b32_e32 v6, s12
	v_mov_b32_e32 v7, s13
	;; [unrolled: 1-line block ×4, first 2 shown]
	global_store_dwordx4 v32, v[6:9], s[10:11] offset:16
	global_store_dwordx4 v32, v[6:9], s[10:11] offset:32
	;; [unrolled: 1-line block ×3, first 2 shown]
	s_and_saveexec_b64 s[10:11], s[0:1]
	s_cbranch_execz .LBB1_168
; %bb.161:
	v_mov_b32_e32 v14, 0
	global_load_dwordx2 v[17:18], v14, s[4:5] offset:32 glc
	global_load_dwordx2 v[6:7], v14, s[4:5] offset:40
	v_mov_b32_e32 v15, s8
	v_mov_b32_e32 v16, s9
	s_waitcnt vmcnt(0)
	v_readfirstlane_b32 s12, v6
	v_readfirstlane_b32 s13, v7
	s_and_b64 s[12:13], s[12:13], s[8:9]
	s_mul_i32 s13, s13, 24
	s_mul_hi_u32 s14, s12, 24
	s_mul_i32 s12, s12, 24
	s_add_i32 s13, s14, s13
	v_mov_b32_e32 v6, s13
	v_add_co_u32_e32 v10, vcc, s12, v12
	v_addc_co_u32_e32 v11, vcc, v13, v6, vcc
	global_store_dwordx2 v[10:11], v[17:18], off
	s_waitcnt vmcnt(0)
	global_atomic_cmpswap_x2 v[8:9], v14, v[15:18], s[4:5] offset:32 glc
	s_waitcnt vmcnt(0)
	v_cmp_ne_u64_e32 vcc, v[8:9], v[17:18]
	s_and_saveexec_b64 s[12:13], vcc
	s_cbranch_execz .LBB1_164
; %bb.162:
	s_mov_b64 s[14:15], 0
.LBB1_163:                              ; =>This Inner Loop Header: Depth=1
	s_sleep 1
	global_store_dwordx2 v[10:11], v[8:9], off
	v_mov_b32_e32 v6, s8
	v_mov_b32_e32 v7, s9
	s_waitcnt vmcnt(0)
	global_atomic_cmpswap_x2 v[6:7], v14, v[6:9], s[4:5] offset:32 glc
	s_waitcnt vmcnt(0)
	v_cmp_eq_u64_e32 vcc, v[6:7], v[8:9]
	v_mov_b32_e32 v9, v7
	s_or_b64 s[14:15], vcc, s[14:15]
	v_mov_b32_e32 v8, v6
	s_andn2_b64 exec, exec, s[14:15]
	s_cbranch_execnz .LBB1_163
.LBB1_164:
	s_or_b64 exec, exec, s[12:13]
	v_mov_b32_e32 v9, 0
	global_load_dwordx2 v[6:7], v9, s[4:5] offset:16
	s_mov_b64 s[12:13], exec
	v_mbcnt_lo_u32_b32 v8, s12, 0
	v_mbcnt_hi_u32_b32 v8, s13, v8
	v_cmp_eq_u32_e32 vcc, 0, v8
	s_and_saveexec_b64 s[14:15], vcc
	s_cbranch_execz .LBB1_166
; %bb.165:
	s_bcnt1_i32_b64 s12, s[12:13]
	v_mov_b32_e32 v8, s12
	s_waitcnt vmcnt(0)
	global_atomic_add_x2 v[6:7], v[8:9], off offset:8
.LBB1_166:
	s_or_b64 exec, exec, s[14:15]
	s_waitcnt vmcnt(0)
	global_load_dwordx2 v[8:9], v[6:7], off offset:16
	s_waitcnt vmcnt(0)
	v_cmp_eq_u64_e32 vcc, 0, v[8:9]
	s_cbranch_vccnz .LBB1_168
; %bb.167:
	global_load_dword v6, v[6:7], off offset:24
	v_mov_b32_e32 v7, 0
	s_waitcnt vmcnt(0)
	v_readfirstlane_b32 s12, v6
	s_and_b32 m0, s12, 0xffffff
	global_store_dwordx2 v[8:9], v[6:7], off
	s_sendmsg sendmsg(MSG_INTERRUPT)
.LBB1_168:
	s_or_b64 exec, exec, s[10:11]
	s_branch .LBB1_172
.LBB1_169:                              ;   in Loop: Header=BB1_172 Depth=1
	s_or_b64 exec, exec, s[10:11]
	v_readfirstlane_b32 s10, v6
	s_cmp_eq_u32 s10, 0
	s_cbranch_scc1 .LBB1_171
; %bb.170:                              ;   in Loop: Header=BB1_172 Depth=1
	s_sleep 1
	s_cbranch_execnz .LBB1_172
	s_branch .LBB1_174
.LBB1_171:
	s_branch .LBB1_174
.LBB1_172:                              ; =>This Inner Loop Header: Depth=1
	v_mov_b32_e32 v6, 1
	s_and_saveexec_b64 s[10:11], s[0:1]
	s_cbranch_execz .LBB1_169
; %bb.173:                              ;   in Loop: Header=BB1_172 Depth=1
	global_load_dword v6, v[0:1], off offset:20 glc
	s_waitcnt vmcnt(0)
	buffer_wbinvl1_vol
	v_and_b32_e32 v6, 1, v6
	s_branch .LBB1_169
.LBB1_174:
	global_load_dwordx2 v[6:7], v[3:4], off
	s_and_saveexec_b64 s[10:11], s[0:1]
	s_cbranch_execz .LBB1_177
; %bb.175:
	v_mov_b32_e32 v3, 0
	global_load_dwordx2 v[0:1], v3, s[4:5] offset:40
	global_load_dwordx2 v[12:13], v3, s[4:5] offset:24 glc
	global_load_dwordx2 v[8:9], v3, s[4:5]
	s_waitcnt vmcnt(2)
	v_readfirstlane_b32 s12, v0
	v_readfirstlane_b32 s13, v1
	s_add_u32 s14, s12, 1
	s_addc_u32 s15, s13, 0
	s_add_u32 s0, s14, s8
	s_addc_u32 s1, s15, s9
	s_cmp_eq_u64 s[0:1], 0
	s_cselect_b32 s1, s15, s1
	s_cselect_b32 s0, s14, s0
	s_and_b64 s[8:9], s[0:1], s[12:13]
	s_mul_i32 s9, s9, 24
	s_mul_hi_u32 s12, s8, 24
	s_mul_i32 s8, s8, 24
	s_add_i32 s9, s12, s9
	v_mov_b32_e32 v1, s9
	s_waitcnt vmcnt(0)
	v_add_co_u32_e32 v0, vcc, s8, v8
	v_addc_co_u32_e32 v1, vcc, v9, v1, vcc
	v_mov_b32_e32 v10, s0
	global_store_dwordx2 v[0:1], v[12:13], off
	v_mov_b32_e32 v11, s1
	s_waitcnt vmcnt(0)
	global_atomic_cmpswap_x2 v[10:11], v3, v[10:13], s[4:5] offset:24 glc
	s_mov_b64 s[8:9], 0
	s_waitcnt vmcnt(0)
	v_cmp_ne_u64_e32 vcc, v[10:11], v[12:13]
	s_and_b64 exec, exec, vcc
	s_cbranch_execz .LBB1_177
.LBB1_176:                              ; =>This Inner Loop Header: Depth=1
	s_sleep 1
	global_store_dwordx2 v[0:1], v[10:11], off
	v_mov_b32_e32 v8, s0
	v_mov_b32_e32 v9, s1
	s_waitcnt vmcnt(0)
	global_atomic_cmpswap_x2 v[8:9], v3, v[8:11], s[4:5] offset:24 glc
	s_waitcnt vmcnt(0)
	v_cmp_eq_u64_e32 vcc, v[8:9], v[10:11]
	v_mov_b32_e32 v11, v9
	s_or_b64 s[8:9], vcc, s[8:9]
	v_mov_b32_e32 v10, v8
	s_andn2_b64 exec, exec, s[8:9]
	s_cbranch_execnz .LBB1_176
.LBB1_177:
	s_or_b64 exec, exec, s[10:11]
	v_readfirstlane_b32 s0, v33
	v_mov_b32_e32 v0, 0
	v_mov_b32_e32 v1, 0
	v_cmp_eq_u32_e64 s[0:1], s0, v33
	s_and_saveexec_b64 s[8:9], s[0:1]
	s_cbranch_execz .LBB1_183
; %bb.178:
	v_mov_b32_e32 v3, 0
	global_load_dwordx2 v[10:11], v3, s[4:5] offset:24 glc
	s_waitcnt vmcnt(0)
	buffer_wbinvl1_vol
	global_load_dwordx2 v[0:1], v3, s[4:5] offset:40
	global_load_dwordx2 v[8:9], v3, s[4:5]
	s_waitcnt vmcnt(1)
	v_and_b32_e32 v0, v0, v10
	v_and_b32_e32 v1, v1, v11
	v_mul_lo_u32 v1, v1, 24
	v_mul_hi_u32 v4, v0, 24
	v_mul_lo_u32 v0, v0, 24
	v_add_u32_e32 v1, v4, v1
	s_waitcnt vmcnt(0)
	v_add_co_u32_e32 v0, vcc, v8, v0
	v_addc_co_u32_e32 v1, vcc, v9, v1, vcc
	global_load_dwordx2 v[8:9], v[0:1], off glc
	s_waitcnt vmcnt(0)
	global_atomic_cmpswap_x2 v[0:1], v3, v[8:11], s[4:5] offset:24 glc
	s_waitcnt vmcnt(0)
	buffer_wbinvl1_vol
	v_cmp_ne_u64_e32 vcc, v[0:1], v[10:11]
	s_and_saveexec_b64 s[10:11], vcc
	s_cbranch_execz .LBB1_182
; %bb.179:
	s_mov_b64 s[12:13], 0
.LBB1_180:                              ; =>This Inner Loop Header: Depth=1
	s_sleep 1
	global_load_dwordx2 v[8:9], v3, s[4:5] offset:40
	global_load_dwordx2 v[12:13], v3, s[4:5]
	v_mov_b32_e32 v11, v1
	v_mov_b32_e32 v10, v0
	s_waitcnt vmcnt(1)
	v_and_b32_e32 v0, v8, v10
	s_waitcnt vmcnt(0)
	v_mad_u64_u32 v[0:1], s[14:15], v0, 24, v[12:13]
	v_and_b32_e32 v4, v9, v11
	v_mad_u64_u32 v[8:9], s[14:15], v4, 24, v[1:2]
	v_mov_b32_e32 v1, v8
	global_load_dwordx2 v[8:9], v[0:1], off glc
	s_waitcnt vmcnt(0)
	global_atomic_cmpswap_x2 v[0:1], v3, v[8:11], s[4:5] offset:24 glc
	s_waitcnt vmcnt(0)
	buffer_wbinvl1_vol
	v_cmp_eq_u64_e32 vcc, v[0:1], v[10:11]
	s_or_b64 s[12:13], vcc, s[12:13]
	s_andn2_b64 exec, exec, s[12:13]
	s_cbranch_execnz .LBB1_180
; %bb.181:
	s_or_b64 exec, exec, s[12:13]
.LBB1_182:
	s_or_b64 exec, exec, s[10:11]
.LBB1_183:
	s_or_b64 exec, exec, s[8:9]
	v_mov_b32_e32 v9, 0
	global_load_dwordx2 v[3:4], v9, s[4:5] offset:40
	global_load_dwordx4 v[10:13], v9, s[4:5]
	v_readfirstlane_b32 s9, v1
	v_readfirstlane_b32 s8, v0
	s_mov_b64 s[10:11], exec
	s_waitcnt vmcnt(1)
	v_readfirstlane_b32 s12, v3
	v_readfirstlane_b32 s13, v4
	s_and_b64 s[12:13], s[12:13], s[8:9]
	s_mul_i32 s14, s13, 24
	s_mul_hi_u32 s15, s12, 24
	s_mul_i32 s16, s12, 24
	s_add_i32 s14, s15, s14
	v_mov_b32_e32 v1, s14
	s_waitcnt vmcnt(0)
	v_add_co_u32_e32 v0, vcc, s16, v10
	v_addc_co_u32_e32 v1, vcc, v11, v1, vcc
	s_and_saveexec_b64 s[14:15], s[0:1]
	s_cbranch_execz .LBB1_185
; %bb.184:
	v_mov_b32_e32 v15, s11
	v_mov_b32_e32 v14, s10
	;; [unrolled: 1-line block ×4, first 2 shown]
	global_store_dwordx4 v[0:1], v[14:17], off offset:8
.LBB1_185:
	s_or_b64 exec, exec, s[14:15]
	s_lshl_b64 s[10:11], s[12:13], 12
	v_mov_b32_e32 v3, s11
	v_add_co_u32_e32 v12, vcc, s10, v12
	v_addc_co_u32_e32 v13, vcc, v13, v3, vcc
	s_movk_i32 s10, 0xff1f
	v_and_or_b32 v6, v6, s10, 32
	v_mov_b32_e32 v8, s6
	v_readfirstlane_b32 s10, v12
	v_readfirstlane_b32 s11, v13
	s_mov_b32 s12, 0
	v_add_co_u32_e32 v3, vcc, v12, v32
	s_mov_b32 s13, s12
	s_mov_b32 s14, s12
	s_nop 0
	global_store_dwordx4 v32, v[6:9], s[10:11]
	s_mov_b32 s15, s12
	v_mov_b32_e32 v6, s12
	v_addc_co_u32_e32 v4, vcc, 0, v13, vcc
	v_mov_b32_e32 v7, s13
	v_mov_b32_e32 v8, s14
	v_mov_b32_e32 v9, s15
	global_store_dwordx4 v32, v[6:9], s[10:11] offset:16
	global_store_dwordx4 v32, v[6:9], s[10:11] offset:32
	;; [unrolled: 1-line block ×3, first 2 shown]
	s_and_saveexec_b64 s[10:11], s[0:1]
	s_cbranch_execz .LBB1_193
; %bb.186:
	v_mov_b32_e32 v12, 0
	global_load_dwordx2 v[15:16], v12, s[4:5] offset:32 glc
	global_load_dwordx2 v[6:7], v12, s[4:5] offset:40
	v_mov_b32_e32 v13, s8
	v_mov_b32_e32 v14, s9
	s_waitcnt vmcnt(0)
	v_readfirstlane_b32 s12, v6
	v_readfirstlane_b32 s13, v7
	s_and_b64 s[12:13], s[12:13], s[8:9]
	s_mul_i32 s6, s13, 24
	s_mul_hi_u32 s13, s12, 24
	s_mul_i32 s12, s12, 24
	s_add_i32 s6, s13, s6
	v_mov_b32_e32 v6, s6
	v_add_co_u32_e32 v10, vcc, s12, v10
	v_addc_co_u32_e32 v11, vcc, v11, v6, vcc
	global_store_dwordx2 v[10:11], v[15:16], off
	s_waitcnt vmcnt(0)
	global_atomic_cmpswap_x2 v[8:9], v12, v[13:16], s[4:5] offset:32 glc
	s_waitcnt vmcnt(0)
	v_cmp_ne_u64_e32 vcc, v[8:9], v[15:16]
	s_and_saveexec_b64 s[12:13], vcc
	s_cbranch_execz .LBB1_189
; %bb.187:
	s_mov_b64 s[14:15], 0
.LBB1_188:                              ; =>This Inner Loop Header: Depth=1
	s_sleep 1
	global_store_dwordx2 v[10:11], v[8:9], off
	v_mov_b32_e32 v6, s8
	v_mov_b32_e32 v7, s9
	s_waitcnt vmcnt(0)
	global_atomic_cmpswap_x2 v[6:7], v12, v[6:9], s[4:5] offset:32 glc
	s_waitcnt vmcnt(0)
	v_cmp_eq_u64_e32 vcc, v[6:7], v[8:9]
	v_mov_b32_e32 v9, v7
	s_or_b64 s[14:15], vcc, s[14:15]
	v_mov_b32_e32 v8, v6
	s_andn2_b64 exec, exec, s[14:15]
	s_cbranch_execnz .LBB1_188
.LBB1_189:
	s_or_b64 exec, exec, s[12:13]
	v_mov_b32_e32 v9, 0
	global_load_dwordx2 v[6:7], v9, s[4:5] offset:16
	s_mov_b64 s[12:13], exec
	v_mbcnt_lo_u32_b32 v8, s12, 0
	v_mbcnt_hi_u32_b32 v8, s13, v8
	v_cmp_eq_u32_e32 vcc, 0, v8
	s_and_saveexec_b64 s[14:15], vcc
	s_cbranch_execz .LBB1_191
; %bb.190:
	s_bcnt1_i32_b64 s6, s[12:13]
	v_mov_b32_e32 v8, s6
	s_waitcnt vmcnt(0)
	global_atomic_add_x2 v[6:7], v[8:9], off offset:8
.LBB1_191:
	s_or_b64 exec, exec, s[14:15]
	s_waitcnt vmcnt(0)
	global_load_dwordx2 v[8:9], v[6:7], off offset:16
	s_waitcnt vmcnt(0)
	v_cmp_eq_u64_e32 vcc, 0, v[8:9]
	s_cbranch_vccnz .LBB1_193
; %bb.192:
	global_load_dword v6, v[6:7], off offset:24
	v_mov_b32_e32 v7, 0
	s_waitcnt vmcnt(0)
	v_readfirstlane_b32 s6, v6
	s_and_b32 m0, s6, 0xffffff
	global_store_dwordx2 v[8:9], v[6:7], off
	s_sendmsg sendmsg(MSG_INTERRUPT)
.LBB1_193:
	s_or_b64 exec, exec, s[10:11]
	s_branch .LBB1_197
.LBB1_194:                              ;   in Loop: Header=BB1_197 Depth=1
	s_or_b64 exec, exec, s[10:11]
	v_readfirstlane_b32 s6, v6
	s_cmp_eq_u32 s6, 0
	s_cbranch_scc1 .LBB1_196
; %bb.195:                              ;   in Loop: Header=BB1_197 Depth=1
	s_sleep 1
	s_cbranch_execnz .LBB1_197
	s_branch .LBB1_199
.LBB1_196:
	s_branch .LBB1_199
.LBB1_197:                              ; =>This Inner Loop Header: Depth=1
	v_mov_b32_e32 v6, 1
	s_and_saveexec_b64 s[10:11], s[0:1]
	s_cbranch_execz .LBB1_194
; %bb.198:                              ;   in Loop: Header=BB1_197 Depth=1
	global_load_dword v6, v[0:1], off offset:20 glc
	s_waitcnt vmcnt(0)
	buffer_wbinvl1_vol
	v_and_b32_e32 v6, 1, v6
	s_branch .LBB1_194
.LBB1_199:
	global_load_dwordx2 v[3:4], v[3:4], off
	s_and_saveexec_b64 s[10:11], s[0:1]
	s_cbranch_execz .LBB1_202
; %bb.200:
	v_mov_b32_e32 v10, 0
	global_load_dwordx2 v[0:1], v10, s[4:5] offset:40
	global_load_dwordx2 v[13:14], v10, s[4:5] offset:24 glc
	global_load_dwordx2 v[6:7], v10, s[4:5]
	s_waitcnt vmcnt(2)
	v_readfirstlane_b32 s12, v0
	v_readfirstlane_b32 s13, v1
	s_add_u32 s6, s12, 1
	s_addc_u32 s14, s13, 0
	s_add_u32 s0, s6, s8
	s_addc_u32 s1, s14, s9
	s_cmp_eq_u64 s[0:1], 0
	s_cselect_b32 s1, s14, s1
	s_cselect_b32 s0, s6, s0
	s_and_b64 s[8:9], s[0:1], s[12:13]
	s_mul_i32 s6, s9, 24
	s_mul_hi_u32 s9, s8, 24
	s_mul_i32 s8, s8, 24
	s_add_i32 s6, s9, s6
	v_mov_b32_e32 v1, s6
	s_waitcnt vmcnt(0)
	v_add_co_u32_e32 v0, vcc, s8, v6
	v_addc_co_u32_e32 v1, vcc, v7, v1, vcc
	v_mov_b32_e32 v11, s0
	global_store_dwordx2 v[0:1], v[13:14], off
	v_mov_b32_e32 v12, s1
	s_waitcnt vmcnt(0)
	global_atomic_cmpswap_x2 v[8:9], v10, v[11:14], s[4:5] offset:24 glc
	s_mov_b64 s[8:9], 0
	s_waitcnt vmcnt(0)
	v_cmp_ne_u64_e32 vcc, v[8:9], v[13:14]
	s_and_b64 exec, exec, vcc
	s_cbranch_execz .LBB1_202
.LBB1_201:                              ; =>This Inner Loop Header: Depth=1
	s_sleep 1
	global_store_dwordx2 v[0:1], v[8:9], off
	v_mov_b32_e32 v6, s0
	v_mov_b32_e32 v7, s1
	s_waitcnt vmcnt(0)
	global_atomic_cmpswap_x2 v[6:7], v10, v[6:9], s[4:5] offset:24 glc
	s_waitcnt vmcnt(0)
	v_cmp_eq_u64_e32 vcc, v[6:7], v[8:9]
	v_mov_b32_e32 v9, v7
	s_or_b64 s[8:9], vcc, s[8:9]
	v_mov_b32_e32 v8, v6
	s_andn2_b64 exec, exec, s[8:9]
	s_cbranch_execnz .LBB1_201
.LBB1_202:
	s_or_b64 exec, exec, s[10:11]
	v_readfirstlane_b32 s0, v33
	v_mov_b32_e32 v0, 0
	v_mov_b32_e32 v1, 0
	v_cmp_eq_u32_e64 s[0:1], s0, v33
	s_and_saveexec_b64 s[8:9], s[0:1]
	s_cbranch_execz .LBB1_208
; %bb.203:
	v_mov_b32_e32 v6, 0
	global_load_dwordx2 v[9:10], v6, s[4:5] offset:24 glc
	s_waitcnt vmcnt(0)
	buffer_wbinvl1_vol
	global_load_dwordx2 v[0:1], v6, s[4:5] offset:40
	global_load_dwordx2 v[7:8], v6, s[4:5]
	s_waitcnt vmcnt(1)
	v_and_b32_e32 v0, v0, v9
	v_and_b32_e32 v1, v1, v10
	v_mul_lo_u32 v1, v1, 24
	v_mul_hi_u32 v11, v0, 24
	v_mul_lo_u32 v0, v0, 24
	v_add_u32_e32 v1, v11, v1
	s_waitcnt vmcnt(0)
	v_add_co_u32_e32 v0, vcc, v7, v0
	v_addc_co_u32_e32 v1, vcc, v8, v1, vcc
	global_load_dwordx2 v[7:8], v[0:1], off glc
	s_waitcnt vmcnt(0)
	global_atomic_cmpswap_x2 v[0:1], v6, v[7:10], s[4:5] offset:24 glc
	s_waitcnt vmcnt(0)
	buffer_wbinvl1_vol
	v_cmp_ne_u64_e32 vcc, v[0:1], v[9:10]
	s_and_saveexec_b64 s[10:11], vcc
	s_cbranch_execz .LBB1_207
; %bb.204:
	s_mov_b64 s[12:13], 0
.LBB1_205:                              ; =>This Inner Loop Header: Depth=1
	s_sleep 1
	global_load_dwordx2 v[7:8], v6, s[4:5] offset:40
	global_load_dwordx2 v[11:12], v6, s[4:5]
	v_mov_b32_e32 v10, v1
	v_mov_b32_e32 v9, v0
	s_waitcnt vmcnt(1)
	v_and_b32_e32 v0, v7, v9
	s_waitcnt vmcnt(0)
	v_mad_u64_u32 v[0:1], s[14:15], v0, 24, v[11:12]
	v_and_b32_e32 v7, v8, v10
	v_mad_u64_u32 v[7:8], s[14:15], v7, 24, v[1:2]
	v_mov_b32_e32 v1, v7
	global_load_dwordx2 v[7:8], v[0:1], off glc
	s_waitcnt vmcnt(0)
	global_atomic_cmpswap_x2 v[0:1], v6, v[7:10], s[4:5] offset:24 glc
	s_waitcnt vmcnt(0)
	buffer_wbinvl1_vol
	v_cmp_eq_u64_e32 vcc, v[0:1], v[9:10]
	s_or_b64 s[12:13], vcc, s[12:13]
	s_andn2_b64 exec, exec, s[12:13]
	s_cbranch_execnz .LBB1_205
; %bb.206:
	s_or_b64 exec, exec, s[12:13]
.LBB1_207:
	s_or_b64 exec, exec, s[10:11]
.LBB1_208:
	s_or_b64 exec, exec, s[8:9]
	v_mov_b32_e32 v6, 0
	global_load_dwordx2 v[11:12], v6, s[4:5] offset:40
	global_load_dwordx4 v[7:10], v6, s[4:5]
	v_readfirstlane_b32 s9, v1
	v_readfirstlane_b32 s8, v0
	s_mov_b64 s[10:11], exec
	s_waitcnt vmcnt(1)
	v_readfirstlane_b32 s12, v11
	v_readfirstlane_b32 s13, v12
	s_and_b64 s[12:13], s[12:13], s[8:9]
	s_mul_i32 s6, s13, 24
	s_mul_hi_u32 s14, s12, 24
	s_mul_i32 s15, s12, 24
	s_add_i32 s6, s14, s6
	v_mov_b32_e32 v1, s6
	s_waitcnt vmcnt(0)
	v_add_co_u32_e32 v0, vcc, s15, v7
	v_addc_co_u32_e32 v1, vcc, v8, v1, vcc
	s_and_saveexec_b64 s[14:15], s[0:1]
	s_cbranch_execz .LBB1_210
; %bb.209:
	v_mov_b32_e32 v12, s11
	v_mov_b32_e32 v11, s10
	v_mov_b32_e32 v13, 2
	v_mov_b32_e32 v14, 1
	global_store_dwordx4 v[0:1], v[11:14], off offset:8
.LBB1_210:
	s_or_b64 exec, exec, s[14:15]
	s_lshl_b64 s[10:11], s[12:13], 12
	v_mov_b32_e32 v11, s11
	v_add_co_u32_e32 v12, vcc, s10, v9
	v_addc_co_u32_e32 v11, vcc, v10, v11, vcc
	s_movk_i32 s6, 0xff1f
	v_and_or_b32 v3, v3, s6, 32
	v_readfirstlane_b32 s10, v12
	v_readfirstlane_b32 s11, v11
	s_mov_b32 s12, 0
	v_add_co_u32_e32 v9, vcc, v12, v32
	s_mov_b32 s13, s12
	s_mov_b32 s14, s12
	s_nop 0
	global_store_dwordx4 v32, v[3:6], s[10:11]
	s_mov_b32 s15, s12
	v_mov_b32_e32 v3, s12
	v_addc_co_u32_e32 v10, vcc, 0, v11, vcc
	v_mov_b32_e32 v4, s13
	v_mov_b32_e32 v5, s14
	;; [unrolled: 1-line block ×3, first 2 shown]
	global_store_dwordx4 v32, v[3:6], s[10:11] offset:16
	global_store_dwordx4 v32, v[3:6], s[10:11] offset:32
	;; [unrolled: 1-line block ×3, first 2 shown]
	s_and_saveexec_b64 s[10:11], s[0:1]
	s_cbranch_execz .LBB1_218
; %bb.211:
	v_mov_b32_e32 v11, 0
	global_load_dwordx2 v[14:15], v11, s[4:5] offset:32 glc
	global_load_dwordx2 v[3:4], v11, s[4:5] offset:40
	v_mov_b32_e32 v12, s8
	v_mov_b32_e32 v13, s9
	s_waitcnt vmcnt(0)
	v_readfirstlane_b32 s12, v3
	v_readfirstlane_b32 s13, v4
	s_and_b64 s[12:13], s[12:13], s[8:9]
	s_mul_i32 s6, s13, 24
	s_mul_hi_u32 s13, s12, 24
	s_mul_i32 s12, s12, 24
	s_add_i32 s6, s13, s6
	v_mov_b32_e32 v3, s6
	v_add_co_u32_e32 v7, vcc, s12, v7
	v_addc_co_u32_e32 v8, vcc, v8, v3, vcc
	global_store_dwordx2 v[7:8], v[14:15], off
	s_waitcnt vmcnt(0)
	global_atomic_cmpswap_x2 v[5:6], v11, v[12:15], s[4:5] offset:32 glc
	s_waitcnt vmcnt(0)
	v_cmp_ne_u64_e32 vcc, v[5:6], v[14:15]
	s_and_saveexec_b64 s[12:13], vcc
	s_cbranch_execz .LBB1_214
; %bb.212:
	s_mov_b64 s[14:15], 0
.LBB1_213:                              ; =>This Inner Loop Header: Depth=1
	s_sleep 1
	global_store_dwordx2 v[7:8], v[5:6], off
	v_mov_b32_e32 v3, s8
	v_mov_b32_e32 v4, s9
	s_waitcnt vmcnt(0)
	global_atomic_cmpswap_x2 v[3:4], v11, v[3:6], s[4:5] offset:32 glc
	s_waitcnt vmcnt(0)
	v_cmp_eq_u64_e32 vcc, v[3:4], v[5:6]
	v_mov_b32_e32 v6, v4
	s_or_b64 s[14:15], vcc, s[14:15]
	v_mov_b32_e32 v5, v3
	s_andn2_b64 exec, exec, s[14:15]
	s_cbranch_execnz .LBB1_213
.LBB1_214:
	s_or_b64 exec, exec, s[12:13]
	v_mov_b32_e32 v6, 0
	global_load_dwordx2 v[3:4], v6, s[4:5] offset:16
	s_mov_b64 s[12:13], exec
	v_mbcnt_lo_u32_b32 v5, s12, 0
	v_mbcnt_hi_u32_b32 v5, s13, v5
	v_cmp_eq_u32_e32 vcc, 0, v5
	s_and_saveexec_b64 s[14:15], vcc
	s_cbranch_execz .LBB1_216
; %bb.215:
	s_bcnt1_i32_b64 s6, s[12:13]
	v_mov_b32_e32 v5, s6
	s_waitcnt vmcnt(0)
	global_atomic_add_x2 v[3:4], v[5:6], off offset:8
.LBB1_216:
	s_or_b64 exec, exec, s[14:15]
	s_waitcnt vmcnt(0)
	global_load_dwordx2 v[5:6], v[3:4], off offset:16
	s_waitcnt vmcnt(0)
	v_cmp_eq_u64_e32 vcc, 0, v[5:6]
	s_cbranch_vccnz .LBB1_218
; %bb.217:
	global_load_dword v3, v[3:4], off offset:24
	v_mov_b32_e32 v4, 0
	s_waitcnt vmcnt(0)
	v_readfirstlane_b32 s6, v3
	s_and_b32 m0, s6, 0xffffff
	global_store_dwordx2 v[5:6], v[3:4], off
	s_sendmsg sendmsg(MSG_INTERRUPT)
.LBB1_218:
	s_or_b64 exec, exec, s[10:11]
	s_branch .LBB1_222
.LBB1_219:                              ;   in Loop: Header=BB1_222 Depth=1
	s_or_b64 exec, exec, s[10:11]
	v_readfirstlane_b32 s6, v3
	s_cmp_eq_u32 s6, 0
	s_cbranch_scc1 .LBB1_221
; %bb.220:                              ;   in Loop: Header=BB1_222 Depth=1
	s_sleep 1
	s_cbranch_execnz .LBB1_222
	s_branch .LBB1_224
.LBB1_221:
	s_branch .LBB1_224
.LBB1_222:                              ; =>This Inner Loop Header: Depth=1
	v_mov_b32_e32 v3, 1
	s_and_saveexec_b64 s[10:11], s[0:1]
	s_cbranch_execz .LBB1_219
; %bb.223:                              ;   in Loop: Header=BB1_222 Depth=1
	global_load_dword v3, v[0:1], off offset:20 glc
	s_waitcnt vmcnt(0)
	buffer_wbinvl1_vol
	v_and_b32_e32 v3, 1, v3
	s_branch .LBB1_219
.LBB1_224:
	global_load_dwordx2 v[3:4], v[9:10], off
	s_and_saveexec_b64 s[10:11], s[0:1]
	s_cbranch_execz .LBB1_227
; %bb.225:
	v_mov_b32_e32 v9, 0
	global_load_dwordx2 v[0:1], v9, s[4:5] offset:40
	global_load_dwordx2 v[12:13], v9, s[4:5] offset:24 glc
	global_load_dwordx2 v[5:6], v9, s[4:5]
	s_waitcnt vmcnt(2)
	v_readfirstlane_b32 s12, v0
	v_readfirstlane_b32 s13, v1
	s_add_u32 s6, s12, 1
	s_addc_u32 s14, s13, 0
	s_add_u32 s0, s6, s8
	s_addc_u32 s1, s14, s9
	s_cmp_eq_u64 s[0:1], 0
	s_cselect_b32 s1, s14, s1
	s_cselect_b32 s0, s6, s0
	s_and_b64 s[8:9], s[0:1], s[12:13]
	s_mul_i32 s6, s9, 24
	s_mul_hi_u32 s9, s8, 24
	s_mul_i32 s8, s8, 24
	s_add_i32 s6, s9, s6
	v_mov_b32_e32 v1, s6
	s_waitcnt vmcnt(0)
	v_add_co_u32_e32 v0, vcc, s8, v5
	v_addc_co_u32_e32 v1, vcc, v6, v1, vcc
	v_mov_b32_e32 v10, s0
	global_store_dwordx2 v[0:1], v[12:13], off
	v_mov_b32_e32 v11, s1
	s_waitcnt vmcnt(0)
	global_atomic_cmpswap_x2 v[7:8], v9, v[10:13], s[4:5] offset:24 glc
	s_mov_b64 s[8:9], 0
	s_waitcnt vmcnt(0)
	v_cmp_ne_u64_e32 vcc, v[7:8], v[12:13]
	s_and_b64 exec, exec, vcc
	s_cbranch_execz .LBB1_227
.LBB1_226:                              ; =>This Inner Loop Header: Depth=1
	s_sleep 1
	global_store_dwordx2 v[0:1], v[7:8], off
	v_mov_b32_e32 v5, s0
	v_mov_b32_e32 v6, s1
	s_waitcnt vmcnt(0)
	global_atomic_cmpswap_x2 v[5:6], v9, v[5:8], s[4:5] offset:24 glc
	s_waitcnt vmcnt(0)
	v_cmp_eq_u64_e32 vcc, v[5:6], v[7:8]
	v_mov_b32_e32 v8, v6
	s_or_b64 s[8:9], vcc, s[8:9]
	v_mov_b32_e32 v7, v5
	s_andn2_b64 exec, exec, s[8:9]
	s_cbranch_execnz .LBB1_226
.LBB1_227:
	s_or_b64 exec, exec, s[10:11]
	v_readfirstlane_b32 s0, v33
	v_mov_b32_e32 v0, 0
	v_mov_b32_e32 v1, 0
	v_cmp_eq_u32_e64 s[0:1], s0, v33
	s_and_saveexec_b64 s[8:9], s[0:1]
	s_cbranch_execz .LBB1_233
; %bb.228:
	v_mov_b32_e32 v5, 0
	global_load_dwordx2 v[8:9], v5, s[4:5] offset:24 glc
	s_waitcnt vmcnt(0)
	buffer_wbinvl1_vol
	global_load_dwordx2 v[0:1], v5, s[4:5] offset:40
	global_load_dwordx2 v[6:7], v5, s[4:5]
	s_waitcnt vmcnt(1)
	v_and_b32_e32 v0, v0, v8
	v_and_b32_e32 v1, v1, v9
	v_mul_lo_u32 v1, v1, 24
	v_mul_hi_u32 v10, v0, 24
	v_mul_lo_u32 v0, v0, 24
	v_add_u32_e32 v1, v10, v1
	s_waitcnt vmcnt(0)
	v_add_co_u32_e32 v0, vcc, v6, v0
	v_addc_co_u32_e32 v1, vcc, v7, v1, vcc
	global_load_dwordx2 v[6:7], v[0:1], off glc
	s_waitcnt vmcnt(0)
	global_atomic_cmpswap_x2 v[0:1], v5, v[6:9], s[4:5] offset:24 glc
	s_waitcnt vmcnt(0)
	buffer_wbinvl1_vol
	v_cmp_ne_u64_e32 vcc, v[0:1], v[8:9]
	s_and_saveexec_b64 s[10:11], vcc
	s_cbranch_execz .LBB1_232
; %bb.229:
	s_mov_b64 s[12:13], 0
.LBB1_230:                              ; =>This Inner Loop Header: Depth=1
	s_sleep 1
	global_load_dwordx2 v[6:7], v5, s[4:5] offset:40
	global_load_dwordx2 v[10:11], v5, s[4:5]
	v_mov_b32_e32 v9, v1
	v_mov_b32_e32 v8, v0
	s_waitcnt vmcnt(1)
	v_and_b32_e32 v0, v6, v8
	s_waitcnt vmcnt(0)
	v_mad_u64_u32 v[0:1], s[14:15], v0, 24, v[10:11]
	v_and_b32_e32 v6, v7, v9
	v_mad_u64_u32 v[6:7], s[14:15], v6, 24, v[1:2]
	v_mov_b32_e32 v1, v6
	global_load_dwordx2 v[6:7], v[0:1], off glc
	s_waitcnt vmcnt(0)
	global_atomic_cmpswap_x2 v[0:1], v5, v[6:9], s[4:5] offset:24 glc
	s_waitcnt vmcnt(0)
	buffer_wbinvl1_vol
	v_cmp_eq_u64_e32 vcc, v[0:1], v[8:9]
	s_or_b64 s[12:13], vcc, s[12:13]
	s_andn2_b64 exec, exec, s[12:13]
	s_cbranch_execnz .LBB1_230
; %bb.231:
	s_or_b64 exec, exec, s[12:13]
.LBB1_232:
	s_or_b64 exec, exec, s[10:11]
.LBB1_233:
	s_or_b64 exec, exec, s[8:9]
	v_mov_b32_e32 v6, 0
	global_load_dwordx2 v[11:12], v6, s[4:5] offset:40
	global_load_dwordx4 v[7:10], v6, s[4:5]
	v_readfirstlane_b32 s9, v1
	v_readfirstlane_b32 s8, v0
	s_mov_b64 s[10:11], exec
	s_waitcnt vmcnt(1)
	v_readfirstlane_b32 s12, v11
	v_readfirstlane_b32 s13, v12
	s_and_b64 s[12:13], s[12:13], s[8:9]
	s_mul_i32 s6, s13, 24
	s_mul_hi_u32 s14, s12, 24
	s_mul_i32 s15, s12, 24
	s_add_i32 s6, s14, s6
	v_mov_b32_e32 v1, s6
	s_waitcnt vmcnt(0)
	v_add_co_u32_e32 v0, vcc, s15, v7
	v_addc_co_u32_e32 v1, vcc, v8, v1, vcc
	s_and_saveexec_b64 s[14:15], s[0:1]
	s_cbranch_execz .LBB1_235
; %bb.234:
	v_mov_b32_e32 v12, s11
	v_mov_b32_e32 v11, s10
	v_mov_b32_e32 v13, 2
	v_mov_b32_e32 v14, 1
	global_store_dwordx4 v[0:1], v[11:14], off offset:8
.LBB1_235:
	s_or_b64 exec, exec, s[14:15]
	s_lshl_b64 s[10:11], s[12:13], 12
	v_mov_b32_e32 v5, s11
	v_add_co_u32_e32 v11, vcc, s10, v9
	v_addc_co_u32_e32 v12, vcc, v10, v5, vcc
	s_movk_i32 s6, 0xff1f
	s_mov_b32 s12, 0
	v_and_or_b32 v3, v3, s6, 32
	v_mov_b32_e32 v5, s7
	v_readfirstlane_b32 s6, v11
	v_readfirstlane_b32 s7, v12
	v_add_co_u32_e32 v9, vcc, v11, v32
	s_mov_b32 s13, s12
	s_mov_b32 s14, s12
	;; [unrolled: 1-line block ×3, first 2 shown]
	s_nop 0
	global_store_dwordx4 v32, v[3:6], s[6:7]
	v_addc_co_u32_e32 v10, vcc, 0, v12, vcc
	v_mov_b32_e32 v3, s12
	v_mov_b32_e32 v4, s13
	;; [unrolled: 1-line block ×4, first 2 shown]
	global_store_dwordx4 v32, v[3:6], s[6:7] offset:16
	global_store_dwordx4 v32, v[3:6], s[6:7] offset:32
	;; [unrolled: 1-line block ×3, first 2 shown]
	s_and_saveexec_b64 s[6:7], s[0:1]
	s_cbranch_execz .LBB1_243
; %bb.236:
	v_mov_b32_e32 v11, 0
	global_load_dwordx2 v[14:15], v11, s[4:5] offset:32 glc
	global_load_dwordx2 v[3:4], v11, s[4:5] offset:40
	v_mov_b32_e32 v12, s8
	v_mov_b32_e32 v13, s9
	s_waitcnt vmcnt(0)
	v_readfirstlane_b32 s10, v3
	v_readfirstlane_b32 s11, v4
	s_and_b64 s[10:11], s[10:11], s[8:9]
	s_mul_i32 s11, s11, 24
	s_mul_hi_u32 s12, s10, 24
	s_mul_i32 s10, s10, 24
	s_add_i32 s11, s12, s11
	v_mov_b32_e32 v3, s11
	v_add_co_u32_e32 v7, vcc, s10, v7
	v_addc_co_u32_e32 v8, vcc, v8, v3, vcc
	global_store_dwordx2 v[7:8], v[14:15], off
	s_waitcnt vmcnt(0)
	global_atomic_cmpswap_x2 v[5:6], v11, v[12:15], s[4:5] offset:32 glc
	s_waitcnt vmcnt(0)
	v_cmp_ne_u64_e32 vcc, v[5:6], v[14:15]
	s_and_saveexec_b64 s[10:11], vcc
	s_cbranch_execz .LBB1_239
; %bb.237:
	s_mov_b64 s[12:13], 0
.LBB1_238:                              ; =>This Inner Loop Header: Depth=1
	s_sleep 1
	global_store_dwordx2 v[7:8], v[5:6], off
	v_mov_b32_e32 v3, s8
	v_mov_b32_e32 v4, s9
	s_waitcnt vmcnt(0)
	global_atomic_cmpswap_x2 v[3:4], v11, v[3:6], s[4:5] offset:32 glc
	s_waitcnt vmcnt(0)
	v_cmp_eq_u64_e32 vcc, v[3:4], v[5:6]
	v_mov_b32_e32 v6, v4
	s_or_b64 s[12:13], vcc, s[12:13]
	v_mov_b32_e32 v5, v3
	s_andn2_b64 exec, exec, s[12:13]
	s_cbranch_execnz .LBB1_238
.LBB1_239:
	s_or_b64 exec, exec, s[10:11]
	v_mov_b32_e32 v6, 0
	global_load_dwordx2 v[3:4], v6, s[4:5] offset:16
	s_mov_b64 s[10:11], exec
	v_mbcnt_lo_u32_b32 v5, s10, 0
	v_mbcnt_hi_u32_b32 v5, s11, v5
	v_cmp_eq_u32_e32 vcc, 0, v5
	s_and_saveexec_b64 s[12:13], vcc
	s_cbranch_execz .LBB1_241
; %bb.240:
	s_bcnt1_i32_b64 s10, s[10:11]
	v_mov_b32_e32 v5, s10
	s_waitcnt vmcnt(0)
	global_atomic_add_x2 v[3:4], v[5:6], off offset:8
.LBB1_241:
	s_or_b64 exec, exec, s[12:13]
	s_waitcnt vmcnt(0)
	global_load_dwordx2 v[5:6], v[3:4], off offset:16
	s_waitcnt vmcnt(0)
	v_cmp_eq_u64_e32 vcc, 0, v[5:6]
	s_cbranch_vccnz .LBB1_243
; %bb.242:
	global_load_dword v3, v[3:4], off offset:24
	v_mov_b32_e32 v4, 0
	s_waitcnt vmcnt(0)
	v_readfirstlane_b32 s10, v3
	s_and_b32 m0, s10, 0xffffff
	global_store_dwordx2 v[5:6], v[3:4], off
	s_sendmsg sendmsg(MSG_INTERRUPT)
.LBB1_243:
	s_or_b64 exec, exec, s[6:7]
	s_branch .LBB1_247
.LBB1_244:                              ;   in Loop: Header=BB1_247 Depth=1
	s_or_b64 exec, exec, s[6:7]
	v_readfirstlane_b32 s6, v3
	s_cmp_eq_u32 s6, 0
	s_cbranch_scc1 .LBB1_246
; %bb.245:                              ;   in Loop: Header=BB1_247 Depth=1
	s_sleep 1
	s_cbranch_execnz .LBB1_247
	s_branch .LBB1_249
.LBB1_246:
	s_branch .LBB1_249
.LBB1_247:                              ; =>This Inner Loop Header: Depth=1
	v_mov_b32_e32 v3, 1
	s_and_saveexec_b64 s[6:7], s[0:1]
	s_cbranch_execz .LBB1_244
; %bb.248:                              ;   in Loop: Header=BB1_247 Depth=1
	global_load_dword v3, v[0:1], off offset:20 glc
	s_waitcnt vmcnt(0)
	buffer_wbinvl1_vol
	v_and_b32_e32 v3, 1, v3
	s_branch .LBB1_244
.LBB1_249:
	global_load_dwordx2 v[0:1], v[9:10], off
	s_and_saveexec_b64 s[6:7], s[0:1]
	s_cbranch_execz .LBB1_252
; %bb.250:
	v_mov_b32_e32 v9, 0
	global_load_dwordx2 v[3:4], v9, s[4:5] offset:40
	global_load_dwordx2 v[12:13], v9, s[4:5] offset:24 glc
	global_load_dwordx2 v[5:6], v9, s[4:5]
	s_waitcnt vmcnt(2)
	v_readfirstlane_b32 s10, v3
	v_readfirstlane_b32 s11, v4
	s_add_u32 s12, s10, 1
	s_addc_u32 s13, s11, 0
	s_add_u32 s0, s12, s8
	s_addc_u32 s1, s13, s9
	s_cmp_eq_u64 s[0:1], 0
	s_cselect_b32 s1, s13, s1
	s_cselect_b32 s0, s12, s0
	s_and_b64 s[8:9], s[0:1], s[10:11]
	s_mul_i32 s9, s9, 24
	s_mul_hi_u32 s10, s8, 24
	s_mul_i32 s8, s8, 24
	s_add_i32 s9, s10, s9
	v_mov_b32_e32 v3, s9
	s_waitcnt vmcnt(0)
	v_add_co_u32_e32 v7, vcc, s8, v5
	v_addc_co_u32_e32 v8, vcc, v6, v3, vcc
	v_mov_b32_e32 v10, s0
	global_store_dwordx2 v[7:8], v[12:13], off
	v_mov_b32_e32 v11, s1
	s_waitcnt vmcnt(0)
	global_atomic_cmpswap_x2 v[5:6], v9, v[10:13], s[4:5] offset:24 glc
	s_mov_b64 s[8:9], 0
	s_waitcnt vmcnt(0)
	v_cmp_ne_u64_e32 vcc, v[5:6], v[12:13]
	s_and_b64 exec, exec, vcc
	s_cbranch_execz .LBB1_252
.LBB1_251:                              ; =>This Inner Loop Header: Depth=1
	s_sleep 1
	global_store_dwordx2 v[7:8], v[5:6], off
	v_mov_b32_e32 v3, s0
	v_mov_b32_e32 v4, s1
	s_waitcnt vmcnt(0)
	global_atomic_cmpswap_x2 v[3:4], v9, v[3:6], s[4:5] offset:24 glc
	s_waitcnt vmcnt(0)
	v_cmp_eq_u64_e32 vcc, v[3:4], v[5:6]
	v_mov_b32_e32 v6, v4
	s_or_b64 s[8:9], vcc, s[8:9]
	v_mov_b32_e32 v5, v3
	s_andn2_b64 exec, exec, s[8:9]
	s_cbranch_execnz .LBB1_251
.LBB1_252:
	s_or_b64 exec, exec, s[6:7]
	v_readfirstlane_b32 s0, v33
	v_mov_b32_e32 v8, 0
	v_mov_b32_e32 v9, 0
	v_cmp_eq_u32_e64 s[0:1], s0, v33
	s_and_saveexec_b64 s[6:7], s[0:1]
	s_cbranch_execz .LBB1_258
; %bb.253:
	v_mov_b32_e32 v3, 0
	global_load_dwordx2 v[6:7], v3, s[4:5] offset:24 glc
	s_waitcnt vmcnt(0)
	buffer_wbinvl1_vol
	global_load_dwordx2 v[4:5], v3, s[4:5] offset:40
	global_load_dwordx2 v[8:9], v3, s[4:5]
	s_waitcnt vmcnt(1)
	v_and_b32_e32 v4, v4, v6
	v_and_b32_e32 v5, v5, v7
	v_mul_lo_u32 v5, v5, 24
	v_mul_hi_u32 v10, v4, 24
	v_mul_lo_u32 v4, v4, 24
	v_add_u32_e32 v5, v10, v5
	s_waitcnt vmcnt(0)
	v_add_co_u32_e32 v4, vcc, v8, v4
	v_addc_co_u32_e32 v5, vcc, v9, v5, vcc
	global_load_dwordx2 v[4:5], v[4:5], off glc
	s_waitcnt vmcnt(0)
	global_atomic_cmpswap_x2 v[8:9], v3, v[4:7], s[4:5] offset:24 glc
	s_waitcnt vmcnt(0)
	buffer_wbinvl1_vol
	v_cmp_ne_u64_e32 vcc, v[8:9], v[6:7]
	s_and_saveexec_b64 s[8:9], vcc
	s_cbranch_execz .LBB1_257
; %bb.254:
	s_mov_b64 s[10:11], 0
.LBB1_255:                              ; =>This Inner Loop Header: Depth=1
	s_sleep 1
	global_load_dwordx2 v[4:5], v3, s[4:5] offset:40
	global_load_dwordx2 v[10:11], v3, s[4:5]
	v_mov_b32_e32 v6, v8
	v_mov_b32_e32 v7, v9
	s_waitcnt vmcnt(1)
	v_and_b32_e32 v4, v4, v6
	s_waitcnt vmcnt(0)
	v_mad_u64_u32 v[8:9], s[12:13], v4, 24, v[10:11]
	v_and_b32_e32 v5, v5, v7
	v_mov_b32_e32 v4, v9
	v_mad_u64_u32 v[4:5], s[12:13], v5, 24, v[4:5]
	v_mov_b32_e32 v9, v4
	global_load_dwordx2 v[4:5], v[8:9], off glc
	s_waitcnt vmcnt(0)
	global_atomic_cmpswap_x2 v[8:9], v3, v[4:7], s[4:5] offset:24 glc
	s_waitcnt vmcnt(0)
	buffer_wbinvl1_vol
	v_cmp_eq_u64_e32 vcc, v[8:9], v[6:7]
	s_or_b64 s[10:11], vcc, s[10:11]
	s_andn2_b64 exec, exec, s[10:11]
	s_cbranch_execnz .LBB1_255
; %bb.256:
	s_or_b64 exec, exec, s[10:11]
.LBB1_257:
	s_or_b64 exec, exec, s[8:9]
.LBB1_258:
	s_or_b64 exec, exec, s[6:7]
	v_mov_b32_e32 v3, 0
	global_load_dwordx2 v[10:11], v3, s[4:5] offset:40
	global_load_dwordx4 v[4:7], v3, s[4:5]
	v_readfirstlane_b32 s7, v9
	v_readfirstlane_b32 s6, v8
	s_mov_b64 s[8:9], exec
	s_waitcnt vmcnt(1)
	v_readfirstlane_b32 s10, v10
	v_readfirstlane_b32 s11, v11
	s_and_b64 s[10:11], s[10:11], s[6:7]
	s_mul_i32 s12, s11, 24
	s_mul_hi_u32 s13, s10, 24
	s_mul_i32 s14, s10, 24
	s_add_i32 s12, s13, s12
	v_mov_b32_e32 v9, s12
	s_waitcnt vmcnt(0)
	v_add_co_u32_e32 v8, vcc, s14, v4
	v_addc_co_u32_e32 v9, vcc, v5, v9, vcc
	s_and_saveexec_b64 s[12:13], s[0:1]
	s_cbranch_execz .LBB1_260
; %bb.259:
	v_mov_b32_e32 v11, s9
	v_mov_b32_e32 v10, s8
	;; [unrolled: 1-line block ×4, first 2 shown]
	global_store_dwordx4 v[8:9], v[10:13], off offset:8
.LBB1_260:
	s_or_b64 exec, exec, s[12:13]
	s_lshl_b64 s[8:9], s[10:11], 12
	v_mov_b32_e32 v10, s9
	v_add_co_u32_e32 v6, vcc, s8, v6
	v_addc_co_u32_e32 v7, vcc, v7, v10, vcc
	s_movk_i32 s8, 0xff1d
	v_and_or_b32 v0, v0, s8, 34
	v_readfirstlane_b32 s12, v6
	v_readfirstlane_b32 s13, v7
	s_mov_b32 s8, 0
	s_mov_b32 s9, s8
	;; [unrolled: 1-line block ×4, first 2 shown]
	s_nop 0
	global_store_dwordx4 v32, v[0:3], s[12:13]
	s_nop 0
	v_mov_b32_e32 v0, s8
	v_mov_b32_e32 v1, s9
	;; [unrolled: 1-line block ×4, first 2 shown]
	global_store_dwordx4 v32, v[0:3], s[12:13] offset:16
	global_store_dwordx4 v32, v[0:3], s[12:13] offset:32
	;; [unrolled: 1-line block ×3, first 2 shown]
	s_and_saveexec_b64 s[8:9], s[0:1]
	s_cbranch_execz .LBB1_268
; %bb.261:
	v_mov_b32_e32 v6, 0
	global_load_dwordx2 v[12:13], v6, s[4:5] offset:32 glc
	global_load_dwordx2 v[0:1], v6, s[4:5] offset:40
	v_mov_b32_e32 v10, s6
	v_mov_b32_e32 v11, s7
	s_waitcnt vmcnt(0)
	v_readfirstlane_b32 s10, v0
	v_readfirstlane_b32 s11, v1
	s_and_b64 s[10:11], s[10:11], s[6:7]
	s_mul_i32 s11, s11, 24
	s_mul_hi_u32 s12, s10, 24
	s_mul_i32 s10, s10, 24
	s_add_i32 s11, s12, s11
	v_mov_b32_e32 v0, s11
	v_add_co_u32_e32 v4, vcc, s10, v4
	v_addc_co_u32_e32 v5, vcc, v5, v0, vcc
	global_store_dwordx2 v[4:5], v[12:13], off
	s_waitcnt vmcnt(0)
	global_atomic_cmpswap_x2 v[2:3], v6, v[10:13], s[4:5] offset:32 glc
	s_waitcnt vmcnt(0)
	v_cmp_ne_u64_e32 vcc, v[2:3], v[12:13]
	s_and_saveexec_b64 s[10:11], vcc
	s_cbranch_execz .LBB1_264
; %bb.262:
	s_mov_b64 s[12:13], 0
.LBB1_263:                              ; =>This Inner Loop Header: Depth=1
	s_sleep 1
	global_store_dwordx2 v[4:5], v[2:3], off
	v_mov_b32_e32 v0, s6
	v_mov_b32_e32 v1, s7
	s_waitcnt vmcnt(0)
	global_atomic_cmpswap_x2 v[0:1], v6, v[0:3], s[4:5] offset:32 glc
	s_waitcnt vmcnt(0)
	v_cmp_eq_u64_e32 vcc, v[0:1], v[2:3]
	v_mov_b32_e32 v3, v1
	s_or_b64 s[12:13], vcc, s[12:13]
	v_mov_b32_e32 v2, v0
	s_andn2_b64 exec, exec, s[12:13]
	s_cbranch_execnz .LBB1_263
.LBB1_264:
	s_or_b64 exec, exec, s[10:11]
	v_mov_b32_e32 v3, 0
	global_load_dwordx2 v[0:1], v3, s[4:5] offset:16
	s_mov_b64 s[10:11], exec
	v_mbcnt_lo_u32_b32 v2, s10, 0
	v_mbcnt_hi_u32_b32 v2, s11, v2
	v_cmp_eq_u32_e32 vcc, 0, v2
	s_and_saveexec_b64 s[12:13], vcc
	s_cbranch_execz .LBB1_266
; %bb.265:
	s_bcnt1_i32_b64 s10, s[10:11]
	v_mov_b32_e32 v2, s10
	s_waitcnt vmcnt(0)
	global_atomic_add_x2 v[0:1], v[2:3], off offset:8
.LBB1_266:
	s_or_b64 exec, exec, s[12:13]
	s_waitcnt vmcnt(0)
	global_load_dwordx2 v[2:3], v[0:1], off offset:16
	s_waitcnt vmcnt(0)
	v_cmp_eq_u64_e32 vcc, 0, v[2:3]
	s_cbranch_vccnz .LBB1_268
; %bb.267:
	global_load_dword v0, v[0:1], off offset:24
	v_mov_b32_e32 v1, 0
	s_waitcnt vmcnt(0)
	v_readfirstlane_b32 s10, v0
	s_and_b32 m0, s10, 0xffffff
	global_store_dwordx2 v[2:3], v[0:1], off
	s_sendmsg sendmsg(MSG_INTERRUPT)
.LBB1_268:
	s_or_b64 exec, exec, s[8:9]
	s_branch .LBB1_272
.LBB1_269:                              ;   in Loop: Header=BB1_272 Depth=1
	s_or_b64 exec, exec, s[8:9]
	v_readfirstlane_b32 s8, v0
	s_cmp_eq_u32 s8, 0
	s_cbranch_scc1 .LBB1_271
; %bb.270:                              ;   in Loop: Header=BB1_272 Depth=1
	s_sleep 1
	s_cbranch_execnz .LBB1_272
	s_branch .LBB1_274
.LBB1_271:
	s_branch .LBB1_274
.LBB1_272:                              ; =>This Inner Loop Header: Depth=1
	v_mov_b32_e32 v0, 1
	s_and_saveexec_b64 s[8:9], s[0:1]
	s_cbranch_execz .LBB1_269
; %bb.273:                              ;   in Loop: Header=BB1_272 Depth=1
	global_load_dword v0, v[8:9], off offset:20 glc
	s_waitcnt vmcnt(0)
	buffer_wbinvl1_vol
	v_and_b32_e32 v0, 1, v0
	s_branch .LBB1_269
.LBB1_274:
	s_and_b64 exec, exec, s[0:1]
	s_cbranch_execz .LBB1_277
; %bb.275:
	v_mov_b32_e32 v6, 0
	global_load_dwordx2 v[0:1], v6, s[4:5] offset:40
	global_load_dwordx2 v[9:10], v6, s[4:5] offset:24 glc
	global_load_dwordx2 v[2:3], v6, s[4:5]
	s_waitcnt vmcnt(2)
	v_readfirstlane_b32 s8, v0
	v_readfirstlane_b32 s9, v1
	s_add_u32 s10, s8, 1
	s_addc_u32 s11, s9, 0
	s_add_u32 s0, s10, s6
	s_addc_u32 s1, s11, s7
	s_cmp_eq_u64 s[0:1], 0
	s_cselect_b32 s1, s11, s1
	s_cselect_b32 s0, s10, s0
	s_and_b64 s[6:7], s[0:1], s[8:9]
	s_mul_i32 s7, s7, 24
	s_mul_hi_u32 s8, s6, 24
	s_mul_i32 s6, s6, 24
	s_add_i32 s7, s8, s7
	v_mov_b32_e32 v0, s7
	s_waitcnt vmcnt(0)
	v_add_co_u32_e32 v4, vcc, s6, v2
	v_addc_co_u32_e32 v5, vcc, v3, v0, vcc
	v_mov_b32_e32 v7, s0
	global_store_dwordx2 v[4:5], v[9:10], off
	v_mov_b32_e32 v8, s1
	s_waitcnt vmcnt(0)
	global_atomic_cmpswap_x2 v[2:3], v6, v[7:10], s[4:5] offset:24 glc
	s_mov_b64 s[6:7], 0
	s_waitcnt vmcnt(0)
	v_cmp_ne_u64_e32 vcc, v[2:3], v[9:10]
	s_and_b64 exec, exec, vcc
	s_cbranch_execz .LBB1_277
.LBB1_276:                              ; =>This Inner Loop Header: Depth=1
	s_sleep 1
	global_store_dwordx2 v[4:5], v[2:3], off
	v_mov_b32_e32 v0, s0
	v_mov_b32_e32 v1, s1
	s_waitcnt vmcnt(0)
	global_atomic_cmpswap_x2 v[0:1], v6, v[0:3], s[4:5] offset:24 glc
	s_waitcnt vmcnt(0)
	v_cmp_eq_u64_e32 vcc, v[0:1], v[2:3]
	v_mov_b32_e32 v3, v1
	s_or_b64 s[6:7], vcc, s[6:7]
	v_mov_b32_e32 v2, v0
	s_andn2_b64 exec, exec, s[6:7]
	s_cbranch_execnz .LBB1_276
.LBB1_277:
	s_or_b64 exec, exec, s[2:3]
	s_mov_b64 s[2:3], 0
.LBB1_278:
	s_mov_b64 s[0:1], 0
	s_and_b64 vcc, exec, s[2:3]
	s_mov_b64 s[2:3], 0
	s_cbranch_vccnz .LBB1_282
; %bb.279:
	s_and_b64 vcc, exec, s[0:1]
	s_cbranch_vccnz .LBB1_283
.LBB1_280:
	s_andn2_b64 vcc, exec, s[2:3]
	s_cbranch_vccz .LBB1_284
; %bb.281:
	s_endpgm
.LBB1_282:
	s_trap 2
	s_mov_b64 s[2:3], -1
	s_and_b64 vcc, exec, s[0:1]
	s_cbranch_vccz .LBB1_280
.LBB1_283:
	s_trap 2
.LBB1_284:
	; divergent unreachable
	s_endpgm
	.section	.rodata,"a",@progbits
	.p2align	6, 0x0
	.amdhsa_kernel _Z32kernel_cg_group_partition_nestedjjPibS_
		.amdhsa_group_segment_fixed_size 0
		.amdhsa_private_segment_fixed_size 0
		.amdhsa_kernarg_size 288
		.amdhsa_user_sgpr_count 6
		.amdhsa_user_sgpr_private_segment_buffer 1
		.amdhsa_user_sgpr_dispatch_ptr 0
		.amdhsa_user_sgpr_queue_ptr 0
		.amdhsa_user_sgpr_kernarg_segment_ptr 1
		.amdhsa_user_sgpr_dispatch_id 0
		.amdhsa_user_sgpr_flat_scratch_init 0
		.amdhsa_user_sgpr_private_segment_size 0
		.amdhsa_uses_dynamic_stack 0
		.amdhsa_system_sgpr_private_segment_wavefront_offset 0
		.amdhsa_system_sgpr_workgroup_id_x 1
		.amdhsa_system_sgpr_workgroup_id_y 0
		.amdhsa_system_sgpr_workgroup_id_z 0
		.amdhsa_system_sgpr_workgroup_info 0
		.amdhsa_system_vgpr_workitem_id 2
		.amdhsa_next_free_vgpr 36
		.amdhsa_next_free_sgpr 23
		.amdhsa_reserve_vcc 1
		.amdhsa_reserve_flat_scratch 0
		.amdhsa_float_round_mode_32 0
		.amdhsa_float_round_mode_16_64 0
		.amdhsa_float_denorm_mode_32 3
		.amdhsa_float_denorm_mode_16_64 3
		.amdhsa_dx10_clamp 1
		.amdhsa_ieee_mode 1
		.amdhsa_fp16_overflow 0
		.amdhsa_exception_fp_ieee_invalid_op 0
		.amdhsa_exception_fp_denorm_src 0
		.amdhsa_exception_fp_ieee_div_zero 0
		.amdhsa_exception_fp_ieee_overflow 0
		.amdhsa_exception_fp_ieee_underflow 0
		.amdhsa_exception_fp_ieee_inexact 0
		.amdhsa_exception_int_div_zero 0
	.end_amdhsa_kernel
	.text
.Lfunc_end1:
	.size	_Z32kernel_cg_group_partition_nestedjjPibS_, .Lfunc_end1-_Z32kernel_cg_group_partition_nestedjjPibS_
                                        ; -- End function
	.set _Z32kernel_cg_group_partition_nestedjjPibS_.num_vgpr, 36
	.set _Z32kernel_cg_group_partition_nestedjjPibS_.num_agpr, 0
	.set _Z32kernel_cg_group_partition_nestedjjPibS_.numbered_sgpr, 23
	.set _Z32kernel_cg_group_partition_nestedjjPibS_.num_named_barrier, 0
	.set _Z32kernel_cg_group_partition_nestedjjPibS_.private_seg_size, 0
	.set _Z32kernel_cg_group_partition_nestedjjPibS_.uses_vcc, 1
	.set _Z32kernel_cg_group_partition_nestedjjPibS_.uses_flat_scratch, 0
	.set _Z32kernel_cg_group_partition_nestedjjPibS_.has_dyn_sized_stack, 0
	.set _Z32kernel_cg_group_partition_nestedjjPibS_.has_recursion, 0
	.set _Z32kernel_cg_group_partition_nestedjjPibS_.has_indirect_call, 0
	.section	.AMDGPU.csdata,"",@progbits
; Kernel info:
; codeLenInByte = 11348
; TotalNumSgprs: 27
; NumVgprs: 36
; ScratchSize: 0
; MemoryBound: 0
; FloatMode: 240
; IeeeMode: 1
; LDSByteSize: 0 bytes/workgroup (compile time only)
; SGPRBlocks: 3
; VGPRBlocks: 8
; NumSGPRsForWavesPerEU: 27
; NumVGPRsForWavesPerEU: 36
; Occupancy: 7
; WaveLimiterHint : 1
; COMPUTE_PGM_RSRC2:SCRATCH_EN: 0
; COMPUTE_PGM_RSRC2:USER_SGPR: 6
; COMPUTE_PGM_RSRC2:TRAP_HANDLER: 0
; COMPUTE_PGM_RSRC2:TGID_X_EN: 1
; COMPUTE_PGM_RSRC2:TGID_Y_EN: 0
; COMPUTE_PGM_RSRC2:TGID_Z_EN: 0
; COMPUTE_PGM_RSRC2:TIDIG_COMP_CNT: 2
	.section	.text._Z32kernel_cg_group_partition_staticILj2EEvPibS0_,"axG",@progbits,_Z32kernel_cg_group_partition_staticILj2EEvPibS0_,comdat
	.protected	_Z32kernel_cg_group_partition_staticILj2EEvPibS0_ ; -- Begin function _Z32kernel_cg_group_partition_staticILj2EEvPibS0_
	.globl	_Z32kernel_cg_group_partition_staticILj2EEvPibS0_
	.p2align	8
	.type	_Z32kernel_cg_group_partition_staticILj2EEvPibS0_,@function
_Z32kernel_cg_group_partition_staticILj2EEvPibS0_: ; @_Z32kernel_cg_group_partition_staticILj2EEvPibS0_
; %bb.0:
	s_mov_b64 s[0:1], src_shared_base
	s_load_dword s0, s[4:5], 0x8
	s_load_dwordx2 s[2:3], s[4:5], 0x24
	s_load_dwordx2 s[8:9], s[4:5], 0x10
	s_waitcnt lgkmcnt(0)
	s_and_b32 s0, 1, s0
	s_add_u32 s6, s4, 24
	s_addc_u32 s7, s5, 0
	s_and_b32 s3, s3, 0xffff
	s_lshr_b32 s10, s2, 16
	s_and_b32 s2, s2, 0xffff
	s_cmp_lg_u32 0, -1
	s_cselect_b32 s11, 0, 0
	s_cselect_b32 s1, s1, 0
	s_cmp_eq_u32 s0, 1
	v_mad_u32_u24 v1, v2, s10, v1
	s_cselect_b32 s27, s9, s1
	v_mad_u64_u32 v[29:30], s[0:1], v1, s2, v[0:1]
	s_mul_i32 s26, s10, s2
	s_mul_i32 s26, s26, s3
	s_cselect_b32 s28, s8, s11
	s_cmp_lt_u32 s26, 2
	s_mov_b32 s1, 0
	s_cbranch_scc1 .LBB2_6
; %bb.1:
	v_ashrrev_i32_e32 v30, 31, v29
	v_lshlrev_b64 v[0:1], 2, v[29:30]
	v_mov_b32_e32 v2, s27
	v_add_co_u32_e32 v0, vcc, s28, v0
	v_addc_co_u32_e32 v1, vcc, v2, v1, vcc
	s_mov_b32 s8, s26
	v_mov_b32_e32 v32, v29
.LBB2_2:                                ; =>This Inner Loop Header: Depth=1
	s_lshr_b32 s0, s8, 1
	v_cmp_gt_i32_e32 vcc, s0, v29
	flat_store_dword v[0:1], v32
	s_waitcnt vmcnt(0) lgkmcnt(0)
	s_barrier
	s_and_saveexec_b64 s[2:3], vcc
	s_cbranch_execz .LBB2_4
; %bb.3:                                ;   in Loop: Header=BB2_2 Depth=1
	s_lshl_b64 s[10:11], s[0:1], 2
	v_mov_b32_e32 v3, s11
	v_add_co_u32_e32 v2, vcc, s10, v0
	v_addc_co_u32_e32 v3, vcc, v1, v3, vcc
	flat_load_dword v2, v[2:3]
	s_waitcnt vmcnt(0) lgkmcnt(0)
	v_add_u32_e32 v32, v2, v32
.LBB2_4:                                ;   in Loop: Header=BB2_2 Depth=1
	s_or_b64 exec, exec, s[2:3]
	s_cmp_gt_u32 s8, 3
	s_barrier
	s_cbranch_scc0 .LBB2_7
; %bb.5:                                ;   in Loop: Header=BB2_2 Depth=1
	s_mov_b32 s8, s0
	s_branch .LBB2_2
.LBB2_6:
	v_mov_b32_e32 v32, v29
.LBB2_7:
	v_cmp_eq_u32_e64 s[0:1], 0, v29
	s_and_saveexec_b64 s[8:9], s[0:1]
	s_cbranch_execz .LBB2_409
; %bb.8:
	s_load_dwordx2 s[10:11], s[6:7], 0x50
	v_mbcnt_lo_u32_b32 v0, -1, 0
	v_mbcnt_hi_u32_b32 v31, -1, v0
	v_readfirstlane_b32 s2, v31
	v_mov_b32_e32 v5, 0
	v_mov_b32_e32 v6, 0
	v_cmp_eq_u32_e64 s[2:3], s2, v31
	s_and_saveexec_b64 s[12:13], s[2:3]
	s_cbranch_execz .LBB2_14
; %bb.9:
	v_mov_b32_e32 v0, 0
	s_waitcnt lgkmcnt(0)
	global_load_dwordx2 v[3:4], v0, s[10:11] offset:24 glc
	s_waitcnt vmcnt(0)
	buffer_wbinvl1_vol
	global_load_dwordx2 v[1:2], v0, s[10:11] offset:40
	global_load_dwordx2 v[5:6], v0, s[10:11]
	s_waitcnt vmcnt(1)
	v_and_b32_e32 v1, v1, v3
	v_and_b32_e32 v2, v2, v4
	v_mul_lo_u32 v2, v2, 24
	v_mul_hi_u32 v7, v1, 24
	v_mul_lo_u32 v1, v1, 24
	v_add_u32_e32 v2, v7, v2
	s_waitcnt vmcnt(0)
	v_add_co_u32_e32 v1, vcc, v5, v1
	v_addc_co_u32_e32 v2, vcc, v6, v2, vcc
	global_load_dwordx2 v[1:2], v[1:2], off glc
	s_waitcnt vmcnt(0)
	global_atomic_cmpswap_x2 v[5:6], v0, v[1:4], s[10:11] offset:24 glc
	s_waitcnt vmcnt(0)
	buffer_wbinvl1_vol
	v_cmp_ne_u64_e32 vcc, v[5:6], v[3:4]
	s_and_saveexec_b64 s[14:15], vcc
	s_cbranch_execz .LBB2_13
; %bb.10:
	s_mov_b64 s[16:17], 0
.LBB2_11:                               ; =>This Inner Loop Header: Depth=1
	s_sleep 1
	global_load_dwordx2 v[1:2], v0, s[10:11] offset:40
	global_load_dwordx2 v[7:8], v0, s[10:11]
	v_mov_b32_e32 v3, v5
	v_mov_b32_e32 v4, v6
	s_waitcnt vmcnt(1)
	v_and_b32_e32 v1, v1, v3
	s_waitcnt vmcnt(0)
	v_mad_u64_u32 v[5:6], s[18:19], v1, 24, v[7:8]
	v_and_b32_e32 v2, v2, v4
	v_mov_b32_e32 v1, v6
	v_mad_u64_u32 v[1:2], s[18:19], v2, 24, v[1:2]
	v_mov_b32_e32 v6, v1
	global_load_dwordx2 v[1:2], v[5:6], off glc
	s_waitcnt vmcnt(0)
	global_atomic_cmpswap_x2 v[5:6], v0, v[1:4], s[10:11] offset:24 glc
	s_waitcnt vmcnt(0)
	buffer_wbinvl1_vol
	v_cmp_eq_u64_e32 vcc, v[5:6], v[3:4]
	s_or_b64 s[16:17], vcc, s[16:17]
	s_andn2_b64 exec, exec, s[16:17]
	s_cbranch_execnz .LBB2_11
; %bb.12:
	s_or_b64 exec, exec, s[16:17]
.LBB2_13:
	s_or_b64 exec, exec, s[14:15]
.LBB2_14:
	s_or_b64 exec, exec, s[12:13]
	v_mov_b32_e32 v4, 0
	s_waitcnt lgkmcnt(0)
	global_load_dwordx2 v[7:8], v4, s[10:11] offset:40
	global_load_dwordx4 v[0:3], v4, s[10:11]
	v_readfirstlane_b32 s13, v6
	v_readfirstlane_b32 s12, v5
	s_mov_b64 s[14:15], exec
	s_waitcnt vmcnt(1)
	v_readfirstlane_b32 s16, v7
	v_readfirstlane_b32 s17, v8
	s_and_b64 s[16:17], s[16:17], s[12:13]
	s_mul_i32 s18, s17, 24
	s_mul_hi_u32 s19, s16, 24
	s_mul_i32 s20, s16, 24
	s_add_i32 s18, s19, s18
	v_mov_b32_e32 v5, s18
	s_waitcnt vmcnt(0)
	v_add_co_u32_e32 v7, vcc, s20, v0
	v_addc_co_u32_e32 v8, vcc, v1, v5, vcc
	s_and_saveexec_b64 s[18:19], s[2:3]
	s_cbranch_execz .LBB2_16
; %bb.15:
	v_mov_b32_e32 v9, s14
	v_mov_b32_e32 v10, s15
	;; [unrolled: 1-line block ×4, first 2 shown]
	global_store_dwordx4 v[7:8], v[9:12], off offset:8
.LBB2_16:
	s_or_b64 exec, exec, s[18:19]
	s_lshl_b64 s[14:15], s[16:17], 12
	v_mov_b32_e32 v5, s15
	v_add_co_u32_e32 v2, vcc, s14, v2
	v_addc_co_u32_e32 v11, vcc, v3, v5, vcc
	v_lshlrev_b32_e32 v30, 6, v31
	s_mov_b32 s16, 0
	v_mov_b32_e32 v3, 33
	v_mov_b32_e32 v5, v4
	;; [unrolled: 1-line block ×3, first 2 shown]
	v_readfirstlane_b32 s14, v2
	v_readfirstlane_b32 s15, v11
	v_add_co_u32_e32 v9, vcc, v2, v30
	s_mov_b32 s17, s16
	s_mov_b32 s18, s16
	;; [unrolled: 1-line block ×3, first 2 shown]
	s_nop 0
	global_store_dwordx4 v30, v[3:6], s[14:15]
	v_mov_b32_e32 v2, s16
	v_addc_co_u32_e32 v10, vcc, 0, v11, vcc
	v_mov_b32_e32 v3, s17
	v_mov_b32_e32 v4, s18
	;; [unrolled: 1-line block ×3, first 2 shown]
	global_store_dwordx4 v30, v[2:5], s[14:15] offset:16
	global_store_dwordx4 v30, v[2:5], s[14:15] offset:32
	;; [unrolled: 1-line block ×3, first 2 shown]
	s_and_saveexec_b64 s[14:15], s[2:3]
	s_cbranch_execz .LBB2_24
; %bb.17:
	v_mov_b32_e32 v6, 0
	global_load_dwordx2 v[13:14], v6, s[10:11] offset:32 glc
	global_load_dwordx2 v[2:3], v6, s[10:11] offset:40
	v_mov_b32_e32 v11, s12
	v_mov_b32_e32 v12, s13
	s_waitcnt vmcnt(0)
	v_and_b32_e32 v2, s12, v2
	v_and_b32_e32 v3, s13, v3
	v_mul_lo_u32 v3, v3, 24
	v_mul_hi_u32 v4, v2, 24
	v_mul_lo_u32 v2, v2, 24
	v_add_u32_e32 v3, v4, v3
	v_add_co_u32_e32 v4, vcc, v0, v2
	v_addc_co_u32_e32 v5, vcc, v1, v3, vcc
	global_store_dwordx2 v[4:5], v[13:14], off
	s_waitcnt vmcnt(0)
	global_atomic_cmpswap_x2 v[2:3], v6, v[11:14], s[10:11] offset:32 glc
	s_waitcnt vmcnt(0)
	v_cmp_ne_u64_e32 vcc, v[2:3], v[13:14]
	s_and_saveexec_b64 s[16:17], vcc
	s_cbranch_execz .LBB2_20
; %bb.18:
	s_mov_b64 s[18:19], 0
.LBB2_19:                               ; =>This Inner Loop Header: Depth=1
	s_sleep 1
	global_store_dwordx2 v[4:5], v[2:3], off
	v_mov_b32_e32 v0, s12
	v_mov_b32_e32 v1, s13
	s_waitcnt vmcnt(0)
	global_atomic_cmpswap_x2 v[0:1], v6, v[0:3], s[10:11] offset:32 glc
	s_waitcnt vmcnt(0)
	v_cmp_eq_u64_e32 vcc, v[0:1], v[2:3]
	v_mov_b32_e32 v3, v1
	s_or_b64 s[18:19], vcc, s[18:19]
	v_mov_b32_e32 v2, v0
	s_andn2_b64 exec, exec, s[18:19]
	s_cbranch_execnz .LBB2_19
.LBB2_20:
	s_or_b64 exec, exec, s[16:17]
	v_mov_b32_e32 v3, 0
	global_load_dwordx2 v[0:1], v3, s[10:11] offset:16
	s_mov_b64 s[16:17], exec
	v_mbcnt_lo_u32_b32 v2, s16, 0
	v_mbcnt_hi_u32_b32 v2, s17, v2
	v_cmp_eq_u32_e32 vcc, 0, v2
	s_and_saveexec_b64 s[18:19], vcc
	s_cbranch_execz .LBB2_22
; %bb.21:
	s_bcnt1_i32_b64 s16, s[16:17]
	v_mov_b32_e32 v2, s16
	s_waitcnt vmcnt(0)
	global_atomic_add_x2 v[0:1], v[2:3], off offset:8
.LBB2_22:
	s_or_b64 exec, exec, s[18:19]
	s_waitcnt vmcnt(0)
	global_load_dwordx2 v[2:3], v[0:1], off offset:16
	s_waitcnt vmcnt(0)
	v_cmp_eq_u64_e32 vcc, 0, v[2:3]
	s_cbranch_vccnz .LBB2_24
; %bb.23:
	global_load_dword v0, v[0:1], off offset:24
	v_mov_b32_e32 v1, 0
	s_waitcnt vmcnt(0)
	v_readfirstlane_b32 s16, v0
	s_and_b32 m0, s16, 0xffffff
	global_store_dwordx2 v[2:3], v[0:1], off
	s_sendmsg sendmsg(MSG_INTERRUPT)
.LBB2_24:
	s_or_b64 exec, exec, s[14:15]
	s_branch .LBB2_28
.LBB2_25:                               ;   in Loop: Header=BB2_28 Depth=1
	s_or_b64 exec, exec, s[14:15]
	v_readfirstlane_b32 s14, v0
	s_cmp_eq_u32 s14, 0
	s_cbranch_scc1 .LBB2_27
; %bb.26:                               ;   in Loop: Header=BB2_28 Depth=1
	s_sleep 1
	s_cbranch_execnz .LBB2_28
	s_branch .LBB2_30
.LBB2_27:
	s_branch .LBB2_30
.LBB2_28:                               ; =>This Inner Loop Header: Depth=1
	v_mov_b32_e32 v0, 1
	s_and_saveexec_b64 s[14:15], s[2:3]
	s_cbranch_execz .LBB2_25
; %bb.29:                               ;   in Loop: Header=BB2_28 Depth=1
	global_load_dword v0, v[7:8], off offset:20 glc
	s_waitcnt vmcnt(0)
	buffer_wbinvl1_vol
	v_and_b32_e32 v0, 1, v0
	s_branch .LBB2_25
.LBB2_30:
	global_load_dwordx2 v[0:1], v[9:10], off
	s_and_saveexec_b64 s[14:15], s[2:3]
	s_cbranch_execz .LBB2_33
; %bb.31:
	v_mov_b32_e32 v8, 0
	global_load_dwordx2 v[2:3], v8, s[10:11] offset:40
	global_load_dwordx2 v[11:12], v8, s[10:11] offset:24 glc
	global_load_dwordx2 v[4:5], v8, s[10:11]
	s_waitcnt vmcnt(2)
	v_readfirstlane_b32 s16, v2
	v_readfirstlane_b32 s17, v3
	s_add_u32 s18, s16, 1
	s_addc_u32 s19, s17, 0
	s_add_u32 s2, s18, s12
	s_addc_u32 s3, s19, s13
	s_cmp_eq_u64 s[2:3], 0
	s_cselect_b32 s3, s19, s3
	s_cselect_b32 s2, s18, s2
	s_and_b64 s[12:13], s[2:3], s[16:17]
	s_mul_i32 s13, s13, 24
	s_mul_hi_u32 s16, s12, 24
	s_mul_i32 s12, s12, 24
	s_add_i32 s13, s16, s13
	v_mov_b32_e32 v2, s13
	s_waitcnt vmcnt(0)
	v_add_co_u32_e32 v6, vcc, s12, v4
	v_addc_co_u32_e32 v7, vcc, v5, v2, vcc
	v_mov_b32_e32 v9, s2
	global_store_dwordx2 v[6:7], v[11:12], off
	v_mov_b32_e32 v10, s3
	s_waitcnt vmcnt(0)
	global_atomic_cmpswap_x2 v[4:5], v8, v[9:12], s[10:11] offset:24 glc
	s_mov_b64 s[12:13], 0
	s_waitcnt vmcnt(0)
	v_cmp_ne_u64_e32 vcc, v[4:5], v[11:12]
	s_and_b64 exec, exec, vcc
	s_cbranch_execz .LBB2_33
.LBB2_32:                               ; =>This Inner Loop Header: Depth=1
	s_sleep 1
	global_store_dwordx2 v[6:7], v[4:5], off
	v_mov_b32_e32 v2, s2
	v_mov_b32_e32 v3, s3
	s_waitcnt vmcnt(0)
	global_atomic_cmpswap_x2 v[2:3], v8, v[2:5], s[10:11] offset:24 glc
	s_waitcnt vmcnt(0)
	v_cmp_eq_u64_e32 vcc, v[2:3], v[4:5]
	v_mov_b32_e32 v5, v3
	s_or_b64 s[12:13], vcc, s[12:13]
	v_mov_b32_e32 v4, v2
	s_andn2_b64 exec, exec, s[12:13]
	s_cbranch_execnz .LBB2_32
.LBB2_33:
	s_or_b64 exec, exec, s[14:15]
	s_getpc_b64 s[12:13]
	s_add_u32 s12, s12, .str.8@rel32@lo+4
	s_addc_u32 s13, s13, .str.8@rel32@hi+12
	s_cmp_lg_u64 s[12:13], 0
	s_cbranch_scc0 .LBB2_119
; %bb.34:
	s_waitcnt vmcnt(0)
	v_and_b32_e32 v33, 2, v0
	v_mov_b32_e32 v26, 0
	v_and_b32_e32 v2, -3, v0
	v_mov_b32_e32 v3, v1
	s_mov_b64 s[14:15], 0x4d
	v_mov_b32_e32 v8, 2
	v_mov_b32_e32 v9, 1
	s_branch .LBB2_36
.LBB2_35:                               ;   in Loop: Header=BB2_36 Depth=1
	s_or_b64 exec, exec, s[20:21]
	s_sub_u32 s14, s14, s16
	s_subb_u32 s15, s15, s17
	s_add_u32 s12, s12, s16
	s_addc_u32 s13, s13, s17
	s_cmp_lg_u64 s[14:15], 0
	s_cbranch_scc0 .LBB2_118
.LBB2_36:                               ; =>This Loop Header: Depth=1
                                        ;     Child Loop BB2_39 Depth 2
                                        ;     Child Loop BB2_47 Depth 2
	;; [unrolled: 1-line block ×11, first 2 shown]
	v_cmp_lt_u64_e64 s[2:3], s[14:15], 56
	v_cmp_gt_u64_e64 s[18:19], s[14:15], 7
	s_and_b64 s[2:3], s[2:3], exec
	s_cselect_b32 s17, s15, 0
	s_cselect_b32 s16, s14, 56
	s_add_u32 s2, s12, 8
	s_addc_u32 s3, s13, 0
	s_and_b64 vcc, exec, s[18:19]
	s_cbranch_vccnz .LBB2_40
; %bb.37:                               ;   in Loop: Header=BB2_36 Depth=1
	s_cmp_eq_u64 s[14:15], 0
	s_cbranch_scc1 .LBB2_41
; %bb.38:                               ;   in Loop: Header=BB2_36 Depth=1
	v_mov_b32_e32 v4, 0
	s_lshl_b64 s[2:3], s[16:17], 3
	s_mov_b64 s[18:19], 0
	v_mov_b32_e32 v5, 0
	s_mov_b64 s[20:21], s[12:13]
.LBB2_39:                               ;   Parent Loop BB2_36 Depth=1
                                        ; =>  This Inner Loop Header: Depth=2
	global_load_ubyte v6, v26, s[20:21]
	s_waitcnt vmcnt(0)
	v_and_b32_e32 v25, 0xffff, v6
	v_lshlrev_b64 v[6:7], s18, v[25:26]
	s_add_u32 s18, s18, 8
	s_addc_u32 s19, s19, 0
	s_add_u32 s20, s20, 1
	s_addc_u32 s21, s21, 0
	v_or_b32_e32 v4, v6, v4
	s_cmp_lg_u32 s2, s18
	v_or_b32_e32 v5, v7, v5
	s_cbranch_scc1 .LBB2_39
	s_branch .LBB2_42
.LBB2_40:                               ;   in Loop: Header=BB2_36 Depth=1
	s_mov_b32 s22, 0
	s_branch .LBB2_43
.LBB2_41:                               ;   in Loop: Header=BB2_36 Depth=1
	v_mov_b32_e32 v4, 0
	v_mov_b32_e32 v5, 0
.LBB2_42:                               ;   in Loop: Header=BB2_36 Depth=1
	s_mov_b64 s[2:3], s[12:13]
	s_mov_b32 s22, 0
	s_cbranch_execnz .LBB2_44
.LBB2_43:                               ;   in Loop: Header=BB2_36 Depth=1
	global_load_dwordx2 v[4:5], v26, s[12:13]
	s_add_i32 s22, s16, -8
.LBB2_44:                               ;   in Loop: Header=BB2_36 Depth=1
	s_add_u32 s18, s2, 8
	s_addc_u32 s19, s3, 0
	s_cmp_gt_u32 s22, 7
	s_cbranch_scc1 .LBB2_48
; %bb.45:                               ;   in Loop: Header=BB2_36 Depth=1
	s_cmp_eq_u32 s22, 0
	s_cbranch_scc1 .LBB2_49
; %bb.46:                               ;   in Loop: Header=BB2_36 Depth=1
	v_mov_b32_e32 v10, 0
	s_mov_b64 s[18:19], 0
	v_mov_b32_e32 v11, 0
	s_mov_b64 s[20:21], 0
.LBB2_47:                               ;   Parent Loop BB2_36 Depth=1
                                        ; =>  This Inner Loop Header: Depth=2
	s_add_u32 s24, s2, s20
	s_addc_u32 s25, s3, s21
	global_load_ubyte v6, v26, s[24:25]
	s_add_u32 s20, s20, 1
	s_addc_u32 s21, s21, 0
	s_waitcnt vmcnt(0)
	v_and_b32_e32 v25, 0xffff, v6
	v_lshlrev_b64 v[6:7], s18, v[25:26]
	s_add_u32 s18, s18, 8
	s_addc_u32 s19, s19, 0
	v_or_b32_e32 v10, v6, v10
	s_cmp_lg_u32 s22, s20
	v_or_b32_e32 v11, v7, v11
	s_cbranch_scc1 .LBB2_47
	s_branch .LBB2_50
.LBB2_48:                               ;   in Loop: Header=BB2_36 Depth=1
                                        ; implicit-def: $vgpr10_vgpr11
	s_mov_b32 s23, 0
	s_branch .LBB2_51
.LBB2_49:                               ;   in Loop: Header=BB2_36 Depth=1
	v_mov_b32_e32 v10, 0
	v_mov_b32_e32 v11, 0
.LBB2_50:                               ;   in Loop: Header=BB2_36 Depth=1
	s_mov_b64 s[18:19], s[2:3]
	s_mov_b32 s23, 0
	s_cbranch_execnz .LBB2_52
.LBB2_51:                               ;   in Loop: Header=BB2_36 Depth=1
	global_load_dwordx2 v[10:11], v26, s[2:3]
	s_add_i32 s23, s22, -8
.LBB2_52:                               ;   in Loop: Header=BB2_36 Depth=1
	s_add_u32 s2, s18, 8
	s_addc_u32 s3, s19, 0
	s_cmp_gt_u32 s23, 7
	s_cbranch_scc1 .LBB2_56
; %bb.53:                               ;   in Loop: Header=BB2_36 Depth=1
	s_cmp_eq_u32 s23, 0
	s_cbranch_scc1 .LBB2_57
; %bb.54:                               ;   in Loop: Header=BB2_36 Depth=1
	v_mov_b32_e32 v12, 0
	s_mov_b64 s[2:3], 0
	v_mov_b32_e32 v13, 0
	s_mov_b64 s[20:21], 0
.LBB2_55:                               ;   Parent Loop BB2_36 Depth=1
                                        ; =>  This Inner Loop Header: Depth=2
	s_add_u32 s24, s18, s20
	s_addc_u32 s25, s19, s21
	global_load_ubyte v6, v26, s[24:25]
	s_add_u32 s20, s20, 1
	s_addc_u32 s21, s21, 0
	s_waitcnt vmcnt(0)
	v_and_b32_e32 v25, 0xffff, v6
	v_lshlrev_b64 v[6:7], s2, v[25:26]
	s_add_u32 s2, s2, 8
	s_addc_u32 s3, s3, 0
	v_or_b32_e32 v12, v6, v12
	s_cmp_lg_u32 s23, s20
	v_or_b32_e32 v13, v7, v13
	s_cbranch_scc1 .LBB2_55
	s_branch .LBB2_58
.LBB2_56:                               ;   in Loop: Header=BB2_36 Depth=1
	s_mov_b32 s22, 0
	s_branch .LBB2_59
.LBB2_57:                               ;   in Loop: Header=BB2_36 Depth=1
	v_mov_b32_e32 v12, 0
	v_mov_b32_e32 v13, 0
.LBB2_58:                               ;   in Loop: Header=BB2_36 Depth=1
	s_mov_b64 s[2:3], s[18:19]
	s_mov_b32 s22, 0
	s_cbranch_execnz .LBB2_60
.LBB2_59:                               ;   in Loop: Header=BB2_36 Depth=1
	global_load_dwordx2 v[12:13], v26, s[18:19]
	s_add_i32 s22, s23, -8
.LBB2_60:                               ;   in Loop: Header=BB2_36 Depth=1
	s_add_u32 s18, s2, 8
	s_addc_u32 s19, s3, 0
	s_cmp_gt_u32 s22, 7
	s_cbranch_scc1 .LBB2_64
; %bb.61:                               ;   in Loop: Header=BB2_36 Depth=1
	s_cmp_eq_u32 s22, 0
	s_cbranch_scc1 .LBB2_65
; %bb.62:                               ;   in Loop: Header=BB2_36 Depth=1
	v_mov_b32_e32 v14, 0
	s_mov_b64 s[18:19], 0
	v_mov_b32_e32 v15, 0
	s_mov_b64 s[20:21], 0
.LBB2_63:                               ;   Parent Loop BB2_36 Depth=1
                                        ; =>  This Inner Loop Header: Depth=2
	s_add_u32 s24, s2, s20
	s_addc_u32 s25, s3, s21
	global_load_ubyte v6, v26, s[24:25]
	s_add_u32 s20, s20, 1
	s_addc_u32 s21, s21, 0
	s_waitcnt vmcnt(0)
	v_and_b32_e32 v25, 0xffff, v6
	v_lshlrev_b64 v[6:7], s18, v[25:26]
	s_add_u32 s18, s18, 8
	s_addc_u32 s19, s19, 0
	v_or_b32_e32 v14, v6, v14
	s_cmp_lg_u32 s22, s20
	v_or_b32_e32 v15, v7, v15
	s_cbranch_scc1 .LBB2_63
	s_branch .LBB2_66
.LBB2_64:                               ;   in Loop: Header=BB2_36 Depth=1
                                        ; implicit-def: $vgpr14_vgpr15
	s_mov_b32 s23, 0
	s_branch .LBB2_67
.LBB2_65:                               ;   in Loop: Header=BB2_36 Depth=1
	v_mov_b32_e32 v14, 0
	v_mov_b32_e32 v15, 0
.LBB2_66:                               ;   in Loop: Header=BB2_36 Depth=1
	s_mov_b64 s[18:19], s[2:3]
	s_mov_b32 s23, 0
	s_cbranch_execnz .LBB2_68
.LBB2_67:                               ;   in Loop: Header=BB2_36 Depth=1
	global_load_dwordx2 v[14:15], v26, s[2:3]
	s_add_i32 s23, s22, -8
.LBB2_68:                               ;   in Loop: Header=BB2_36 Depth=1
	s_add_u32 s2, s18, 8
	s_addc_u32 s3, s19, 0
	s_cmp_gt_u32 s23, 7
	s_cbranch_scc1 .LBB2_72
; %bb.69:                               ;   in Loop: Header=BB2_36 Depth=1
	s_cmp_eq_u32 s23, 0
	s_cbranch_scc1 .LBB2_73
; %bb.70:                               ;   in Loop: Header=BB2_36 Depth=1
	v_mov_b32_e32 v16, 0
	s_mov_b64 s[2:3], 0
	v_mov_b32_e32 v17, 0
	s_mov_b64 s[20:21], 0
.LBB2_71:                               ;   Parent Loop BB2_36 Depth=1
                                        ; =>  This Inner Loop Header: Depth=2
	s_add_u32 s24, s18, s20
	s_addc_u32 s25, s19, s21
	global_load_ubyte v6, v26, s[24:25]
	s_add_u32 s20, s20, 1
	s_addc_u32 s21, s21, 0
	s_waitcnt vmcnt(0)
	v_and_b32_e32 v25, 0xffff, v6
	v_lshlrev_b64 v[6:7], s2, v[25:26]
	s_add_u32 s2, s2, 8
	s_addc_u32 s3, s3, 0
	v_or_b32_e32 v16, v6, v16
	s_cmp_lg_u32 s23, s20
	v_or_b32_e32 v17, v7, v17
	s_cbranch_scc1 .LBB2_71
	s_branch .LBB2_74
.LBB2_72:                               ;   in Loop: Header=BB2_36 Depth=1
	s_mov_b32 s22, 0
	s_branch .LBB2_75
.LBB2_73:                               ;   in Loop: Header=BB2_36 Depth=1
	v_mov_b32_e32 v16, 0
	v_mov_b32_e32 v17, 0
.LBB2_74:                               ;   in Loop: Header=BB2_36 Depth=1
	s_mov_b64 s[2:3], s[18:19]
	s_mov_b32 s22, 0
	s_cbranch_execnz .LBB2_76
.LBB2_75:                               ;   in Loop: Header=BB2_36 Depth=1
	global_load_dwordx2 v[16:17], v26, s[18:19]
	s_add_i32 s22, s23, -8
.LBB2_76:                               ;   in Loop: Header=BB2_36 Depth=1
	s_add_u32 s18, s2, 8
	s_addc_u32 s19, s3, 0
	s_cmp_gt_u32 s22, 7
	s_cbranch_scc1 .LBB2_80
; %bb.77:                               ;   in Loop: Header=BB2_36 Depth=1
	s_cmp_eq_u32 s22, 0
	s_cbranch_scc1 .LBB2_81
; %bb.78:                               ;   in Loop: Header=BB2_36 Depth=1
	v_mov_b32_e32 v18, 0
	s_mov_b64 s[18:19], 0
	v_mov_b32_e32 v19, 0
	s_mov_b64 s[20:21], 0
.LBB2_79:                               ;   Parent Loop BB2_36 Depth=1
                                        ; =>  This Inner Loop Header: Depth=2
	s_add_u32 s24, s2, s20
	s_addc_u32 s25, s3, s21
	global_load_ubyte v6, v26, s[24:25]
	s_add_u32 s20, s20, 1
	s_addc_u32 s21, s21, 0
	s_waitcnt vmcnt(0)
	v_and_b32_e32 v25, 0xffff, v6
	v_lshlrev_b64 v[6:7], s18, v[25:26]
	s_add_u32 s18, s18, 8
	s_addc_u32 s19, s19, 0
	v_or_b32_e32 v18, v6, v18
	s_cmp_lg_u32 s22, s20
	v_or_b32_e32 v19, v7, v19
	s_cbranch_scc1 .LBB2_79
	s_branch .LBB2_82
.LBB2_80:                               ;   in Loop: Header=BB2_36 Depth=1
                                        ; implicit-def: $vgpr18_vgpr19
	s_mov_b32 s23, 0
	s_branch .LBB2_83
.LBB2_81:                               ;   in Loop: Header=BB2_36 Depth=1
	v_mov_b32_e32 v18, 0
	v_mov_b32_e32 v19, 0
.LBB2_82:                               ;   in Loop: Header=BB2_36 Depth=1
	s_mov_b64 s[18:19], s[2:3]
	s_mov_b32 s23, 0
	s_cbranch_execnz .LBB2_84
.LBB2_83:                               ;   in Loop: Header=BB2_36 Depth=1
	global_load_dwordx2 v[18:19], v26, s[2:3]
	s_add_i32 s23, s22, -8
.LBB2_84:                               ;   in Loop: Header=BB2_36 Depth=1
	s_cmp_gt_u32 s23, 7
	s_cbranch_scc1 .LBB2_88
; %bb.85:                               ;   in Loop: Header=BB2_36 Depth=1
	s_cmp_eq_u32 s23, 0
	s_cbranch_scc1 .LBB2_89
; %bb.86:                               ;   in Loop: Header=BB2_36 Depth=1
	v_mov_b32_e32 v20, 0
	s_mov_b64 s[2:3], 0
	v_mov_b32_e32 v21, 0
	s_mov_b64 s[20:21], s[18:19]
.LBB2_87:                               ;   Parent Loop BB2_36 Depth=1
                                        ; =>  This Inner Loop Header: Depth=2
	global_load_ubyte v6, v26, s[20:21]
	s_add_i32 s23, s23, -1
	s_waitcnt vmcnt(0)
	v_and_b32_e32 v25, 0xffff, v6
	v_lshlrev_b64 v[6:7], s2, v[25:26]
	s_add_u32 s2, s2, 8
	s_addc_u32 s3, s3, 0
	s_add_u32 s20, s20, 1
	s_addc_u32 s21, s21, 0
	v_or_b32_e32 v20, v6, v20
	s_cmp_lg_u32 s23, 0
	v_or_b32_e32 v21, v7, v21
	s_cbranch_scc1 .LBB2_87
	s_branch .LBB2_90
.LBB2_88:                               ;   in Loop: Header=BB2_36 Depth=1
	s_branch .LBB2_91
.LBB2_89:                               ;   in Loop: Header=BB2_36 Depth=1
	v_mov_b32_e32 v20, 0
	v_mov_b32_e32 v21, 0
.LBB2_90:                               ;   in Loop: Header=BB2_36 Depth=1
	s_cbranch_execnz .LBB2_92
.LBB2_91:                               ;   in Loop: Header=BB2_36 Depth=1
	global_load_dwordx2 v[20:21], v26, s[18:19]
.LBB2_92:                               ;   in Loop: Header=BB2_36 Depth=1
	v_readfirstlane_b32 s2, v31
	v_mov_b32_e32 v6, 0
	v_mov_b32_e32 v7, 0
	v_cmp_eq_u32_e64 s[2:3], s2, v31
	s_and_saveexec_b64 s[18:19], s[2:3]
	s_cbranch_execz .LBB2_98
; %bb.93:                               ;   in Loop: Header=BB2_36 Depth=1
	global_load_dwordx2 v[24:25], v26, s[10:11] offset:24 glc
	s_waitcnt vmcnt(0)
	buffer_wbinvl1_vol
	global_load_dwordx2 v[6:7], v26, s[10:11] offset:40
	global_load_dwordx2 v[22:23], v26, s[10:11]
	s_waitcnt vmcnt(1)
	v_and_b32_e32 v6, v6, v24
	v_and_b32_e32 v7, v7, v25
	v_mul_lo_u32 v7, v7, 24
	v_mul_hi_u32 v27, v6, 24
	v_mul_lo_u32 v6, v6, 24
	v_add_u32_e32 v7, v27, v7
	s_waitcnt vmcnt(0)
	v_add_co_u32_e32 v6, vcc, v22, v6
	v_addc_co_u32_e32 v7, vcc, v23, v7, vcc
	global_load_dwordx2 v[22:23], v[6:7], off glc
	s_waitcnt vmcnt(0)
	global_atomic_cmpswap_x2 v[6:7], v26, v[22:25], s[10:11] offset:24 glc
	s_waitcnt vmcnt(0)
	buffer_wbinvl1_vol
	v_cmp_ne_u64_e32 vcc, v[6:7], v[24:25]
	s_and_saveexec_b64 s[20:21], vcc
	s_cbranch_execz .LBB2_97
; %bb.94:                               ;   in Loop: Header=BB2_36 Depth=1
	s_mov_b64 s[22:23], 0
.LBB2_95:                               ;   Parent Loop BB2_36 Depth=1
                                        ; =>  This Inner Loop Header: Depth=2
	s_sleep 1
	global_load_dwordx2 v[22:23], v26, s[10:11] offset:40
	global_load_dwordx2 v[27:28], v26, s[10:11]
	v_mov_b32_e32 v25, v7
	v_mov_b32_e32 v24, v6
	s_waitcnt vmcnt(1)
	v_and_b32_e32 v6, v22, v24
	s_waitcnt vmcnt(0)
	v_mad_u64_u32 v[6:7], s[24:25], v6, 24, v[27:28]
	v_and_b32_e32 v22, v23, v25
	v_mad_u64_u32 v[22:23], s[24:25], v22, 24, v[7:8]
	v_mov_b32_e32 v7, v22
	global_load_dwordx2 v[22:23], v[6:7], off glc
	s_waitcnt vmcnt(0)
	global_atomic_cmpswap_x2 v[6:7], v26, v[22:25], s[10:11] offset:24 glc
	s_waitcnt vmcnt(0)
	buffer_wbinvl1_vol
	v_cmp_eq_u64_e32 vcc, v[6:7], v[24:25]
	s_or_b64 s[22:23], vcc, s[22:23]
	s_andn2_b64 exec, exec, s[22:23]
	s_cbranch_execnz .LBB2_95
; %bb.96:                               ;   in Loop: Header=BB2_36 Depth=1
	s_or_b64 exec, exec, s[22:23]
.LBB2_97:                               ;   in Loop: Header=BB2_36 Depth=1
	s_or_b64 exec, exec, s[20:21]
.LBB2_98:                               ;   in Loop: Header=BB2_36 Depth=1
	s_or_b64 exec, exec, s[18:19]
	global_load_dwordx2 v[27:28], v26, s[10:11] offset:40
	global_load_dwordx4 v[22:25], v26, s[10:11]
	v_readfirstlane_b32 s19, v7
	v_readfirstlane_b32 s18, v6
	s_mov_b64 s[20:21], exec
	s_waitcnt vmcnt(1)
	v_readfirstlane_b32 s22, v27
	v_readfirstlane_b32 s23, v28
	s_and_b64 s[22:23], s[22:23], s[18:19]
	s_mul_i32 s24, s23, 24
	s_mul_hi_u32 s25, s22, 24
	s_mul_i32 s29, s22, 24
	s_add_i32 s24, s25, s24
	v_mov_b32_e32 v6, s24
	s_waitcnt vmcnt(0)
	v_add_co_u32_e32 v27, vcc, s29, v22
	v_addc_co_u32_e32 v28, vcc, v23, v6, vcc
	s_and_saveexec_b64 s[24:25], s[2:3]
	s_cbranch_execz .LBB2_100
; %bb.99:                               ;   in Loop: Header=BB2_36 Depth=1
	v_mov_b32_e32 v6, s20
	v_mov_b32_e32 v7, s21
	global_store_dwordx4 v[27:28], v[6:9], off offset:8
.LBB2_100:                              ;   in Loop: Header=BB2_36 Depth=1
	s_or_b64 exec, exec, s[24:25]
	s_lshl_b64 s[20:21], s[22:23], 12
	v_mov_b32_e32 v6, s21
	v_add_co_u32_e32 v24, vcc, s20, v24
	v_addc_co_u32_e32 v34, vcc, v25, v6, vcc
	v_cmp_lt_u64_e64 vcc, s[14:15], 57
	s_lshl_b32 s20, s16, 2
	v_cndmask_b32_e32 v6, 0, v33, vcc
	s_add_i32 s20, s20, 28
	v_and_b32_e32 v2, 0xffffff1f, v2
	s_and_b32 s20, s20, 0x1e0
	v_or_b32_e32 v2, v2, v6
	v_or_b32_e32 v2, s20, v2
	v_readfirstlane_b32 s20, v24
	v_readfirstlane_b32 s21, v34
	s_nop 4
	global_store_dwordx4 v30, v[2:5], s[20:21]
	global_store_dwordx4 v30, v[10:13], s[20:21] offset:16
	global_store_dwordx4 v30, v[14:17], s[20:21] offset:32
	;; [unrolled: 1-line block ×3, first 2 shown]
	s_and_saveexec_b64 s[20:21], s[2:3]
	s_cbranch_execz .LBB2_108
; %bb.101:                              ;   in Loop: Header=BB2_36 Depth=1
	global_load_dwordx2 v[12:13], v26, s[10:11] offset:32 glc
	global_load_dwordx2 v[2:3], v26, s[10:11] offset:40
	v_mov_b32_e32 v10, s18
	v_mov_b32_e32 v11, s19
	s_waitcnt vmcnt(0)
	v_readfirstlane_b32 s22, v2
	v_readfirstlane_b32 s23, v3
	s_and_b64 s[22:23], s[22:23], s[18:19]
	s_mul_i32 s23, s23, 24
	s_mul_hi_u32 s24, s22, 24
	s_mul_i32 s22, s22, 24
	s_add_i32 s23, s24, s23
	v_mov_b32_e32 v2, s23
	v_add_co_u32_e32 v6, vcc, s22, v22
	v_addc_co_u32_e32 v7, vcc, v23, v2, vcc
	global_store_dwordx2 v[6:7], v[12:13], off
	s_waitcnt vmcnt(0)
	global_atomic_cmpswap_x2 v[4:5], v26, v[10:13], s[10:11] offset:32 glc
	s_waitcnt vmcnt(0)
	v_cmp_ne_u64_e32 vcc, v[4:5], v[12:13]
	s_and_saveexec_b64 s[22:23], vcc
	s_cbranch_execz .LBB2_104
; %bb.102:                              ;   in Loop: Header=BB2_36 Depth=1
	s_mov_b64 s[24:25], 0
.LBB2_103:                              ;   Parent Loop BB2_36 Depth=1
                                        ; =>  This Inner Loop Header: Depth=2
	s_sleep 1
	global_store_dwordx2 v[6:7], v[4:5], off
	v_mov_b32_e32 v2, s18
	v_mov_b32_e32 v3, s19
	s_waitcnt vmcnt(0)
	global_atomic_cmpswap_x2 v[2:3], v26, v[2:5], s[10:11] offset:32 glc
	s_waitcnt vmcnt(0)
	v_cmp_eq_u64_e32 vcc, v[2:3], v[4:5]
	v_mov_b32_e32 v5, v3
	s_or_b64 s[24:25], vcc, s[24:25]
	v_mov_b32_e32 v4, v2
	s_andn2_b64 exec, exec, s[24:25]
	s_cbranch_execnz .LBB2_103
.LBB2_104:                              ;   in Loop: Header=BB2_36 Depth=1
	s_or_b64 exec, exec, s[22:23]
	global_load_dwordx2 v[2:3], v26, s[10:11] offset:16
	s_mov_b64 s[24:25], exec
	v_mbcnt_lo_u32_b32 v4, s24, 0
	v_mbcnt_hi_u32_b32 v4, s25, v4
	v_cmp_eq_u32_e32 vcc, 0, v4
	s_and_saveexec_b64 s[22:23], vcc
	s_cbranch_execz .LBB2_106
; %bb.105:                              ;   in Loop: Header=BB2_36 Depth=1
	s_bcnt1_i32_b64 s24, s[24:25]
	v_mov_b32_e32 v25, s24
	s_waitcnt vmcnt(0)
	global_atomic_add_x2 v[2:3], v[25:26], off offset:8
.LBB2_106:                              ;   in Loop: Header=BB2_36 Depth=1
	s_or_b64 exec, exec, s[22:23]
	s_waitcnt vmcnt(0)
	global_load_dwordx2 v[4:5], v[2:3], off offset:16
	s_waitcnt vmcnt(0)
	v_cmp_eq_u64_e32 vcc, 0, v[4:5]
	s_cbranch_vccnz .LBB2_108
; %bb.107:                              ;   in Loop: Header=BB2_36 Depth=1
	global_load_dword v25, v[2:3], off offset:24
	s_waitcnt vmcnt(0)
	v_readfirstlane_b32 s22, v25
	s_and_b32 m0, s22, 0xffffff
	global_store_dwordx2 v[4:5], v[25:26], off
	s_sendmsg sendmsg(MSG_INTERRUPT)
.LBB2_108:                              ;   in Loop: Header=BB2_36 Depth=1
	s_or_b64 exec, exec, s[20:21]
	v_add_co_u32_e32 v2, vcc, v24, v30
	v_addc_co_u32_e32 v3, vcc, 0, v34, vcc
	s_branch .LBB2_112
.LBB2_109:                              ;   in Loop: Header=BB2_112 Depth=2
	s_or_b64 exec, exec, s[20:21]
	v_readfirstlane_b32 s20, v4
	s_cmp_eq_u32 s20, 0
	s_cbranch_scc1 .LBB2_111
; %bb.110:                              ;   in Loop: Header=BB2_112 Depth=2
	s_sleep 1
	s_cbranch_execnz .LBB2_112
	s_branch .LBB2_114
.LBB2_111:                              ;   in Loop: Header=BB2_36 Depth=1
	s_branch .LBB2_114
.LBB2_112:                              ;   Parent Loop BB2_36 Depth=1
                                        ; =>  This Inner Loop Header: Depth=2
	v_mov_b32_e32 v4, 1
	s_and_saveexec_b64 s[20:21], s[2:3]
	s_cbranch_execz .LBB2_109
; %bb.113:                              ;   in Loop: Header=BB2_112 Depth=2
	global_load_dword v4, v[27:28], off offset:20 glc
	s_waitcnt vmcnt(0)
	buffer_wbinvl1_vol
	v_and_b32_e32 v4, 1, v4
	s_branch .LBB2_109
.LBB2_114:                              ;   in Loop: Header=BB2_36 Depth=1
	global_load_dwordx2 v[2:3], v[2:3], off
	s_and_saveexec_b64 s[20:21], s[2:3]
	s_cbranch_execz .LBB2_35
; %bb.115:                              ;   in Loop: Header=BB2_36 Depth=1
	global_load_dwordx2 v[4:5], v26, s[10:11] offset:40
	global_load_dwordx2 v[14:15], v26, s[10:11] offset:24 glc
	global_load_dwordx2 v[6:7], v26, s[10:11]
	s_waitcnt vmcnt(2)
	v_readfirstlane_b32 s22, v4
	v_readfirstlane_b32 s23, v5
	s_add_u32 s24, s22, 1
	s_addc_u32 s25, s23, 0
	s_add_u32 s2, s24, s18
	s_addc_u32 s3, s25, s19
	s_cmp_eq_u64 s[2:3], 0
	s_cselect_b32 s3, s25, s3
	s_cselect_b32 s2, s24, s2
	s_and_b64 s[18:19], s[2:3], s[22:23]
	s_mul_i32 s19, s19, 24
	s_mul_hi_u32 s22, s18, 24
	s_mul_i32 s18, s18, 24
	s_add_i32 s19, s22, s19
	v_mov_b32_e32 v4, s19
	s_waitcnt vmcnt(0)
	v_add_co_u32_e32 v10, vcc, s18, v6
	v_addc_co_u32_e32 v11, vcc, v7, v4, vcc
	v_mov_b32_e32 v12, s2
	global_store_dwordx2 v[10:11], v[14:15], off
	v_mov_b32_e32 v13, s3
	s_waitcnt vmcnt(0)
	global_atomic_cmpswap_x2 v[6:7], v26, v[12:15], s[10:11] offset:24 glc
	s_waitcnt vmcnt(0)
	v_cmp_ne_u64_e32 vcc, v[6:7], v[14:15]
	s_and_b64 exec, exec, vcc
	s_cbranch_execz .LBB2_35
; %bb.116:                              ;   in Loop: Header=BB2_36 Depth=1
	s_mov_b64 s[18:19], 0
.LBB2_117:                              ;   Parent Loop BB2_36 Depth=1
                                        ; =>  This Inner Loop Header: Depth=2
	s_sleep 1
	global_store_dwordx2 v[10:11], v[6:7], off
	v_mov_b32_e32 v4, s2
	v_mov_b32_e32 v5, s3
	s_waitcnt vmcnt(0)
	global_atomic_cmpswap_x2 v[4:5], v26, v[4:7], s[10:11] offset:24 glc
	s_waitcnt vmcnt(0)
	v_cmp_eq_u64_e32 vcc, v[4:5], v[6:7]
	v_mov_b32_e32 v7, v5
	s_or_b64 s[18:19], vcc, s[18:19]
	v_mov_b32_e32 v6, v4
	s_andn2_b64 exec, exec, s[18:19]
	s_cbranch_execnz .LBB2_117
	s_branch .LBB2_35
.LBB2_118:
	s_branch .LBB2_146
.LBB2_119:
                                        ; implicit-def: $vgpr2_vgpr3
	s_cbranch_execz .LBB2_146
; %bb.120:
	v_readfirstlane_b32 s2, v31
	v_mov_b32_e32 v8, 0
	v_mov_b32_e32 v9, 0
	v_cmp_eq_u32_e64 s[2:3], s2, v31
	s_and_saveexec_b64 s[12:13], s[2:3]
	s_cbranch_execz .LBB2_126
; %bb.121:
	s_waitcnt vmcnt(0)
	v_mov_b32_e32 v2, 0
	global_load_dwordx2 v[5:6], v2, s[10:11] offset:24 glc
	s_waitcnt vmcnt(0)
	buffer_wbinvl1_vol
	global_load_dwordx2 v[3:4], v2, s[10:11] offset:40
	global_load_dwordx2 v[7:8], v2, s[10:11]
	s_waitcnt vmcnt(1)
	v_and_b32_e32 v3, v3, v5
	v_and_b32_e32 v4, v4, v6
	v_mul_lo_u32 v4, v4, 24
	v_mul_hi_u32 v9, v3, 24
	v_mul_lo_u32 v3, v3, 24
	v_add_u32_e32 v4, v9, v4
	s_waitcnt vmcnt(0)
	v_add_co_u32_e32 v3, vcc, v7, v3
	v_addc_co_u32_e32 v4, vcc, v8, v4, vcc
	global_load_dwordx2 v[3:4], v[3:4], off glc
	s_waitcnt vmcnt(0)
	global_atomic_cmpswap_x2 v[8:9], v2, v[3:6], s[10:11] offset:24 glc
	s_waitcnt vmcnt(0)
	buffer_wbinvl1_vol
	v_cmp_ne_u64_e32 vcc, v[8:9], v[5:6]
	s_and_saveexec_b64 s[14:15], vcc
	s_cbranch_execz .LBB2_125
; %bb.122:
	s_mov_b64 s[16:17], 0
.LBB2_123:                              ; =>This Inner Loop Header: Depth=1
	s_sleep 1
	global_load_dwordx2 v[3:4], v2, s[10:11] offset:40
	global_load_dwordx2 v[10:11], v2, s[10:11]
	v_mov_b32_e32 v5, v8
	v_mov_b32_e32 v6, v9
	s_waitcnt vmcnt(1)
	v_and_b32_e32 v3, v3, v5
	s_waitcnt vmcnt(0)
	v_mad_u64_u32 v[7:8], s[18:19], v3, 24, v[10:11]
	v_and_b32_e32 v4, v4, v6
	v_mov_b32_e32 v3, v8
	v_mad_u64_u32 v[3:4], s[18:19], v4, 24, v[3:4]
	v_mov_b32_e32 v8, v3
	global_load_dwordx2 v[3:4], v[7:8], off glc
	s_waitcnt vmcnt(0)
	global_atomic_cmpswap_x2 v[8:9], v2, v[3:6], s[10:11] offset:24 glc
	s_waitcnt vmcnt(0)
	buffer_wbinvl1_vol
	v_cmp_eq_u64_e32 vcc, v[8:9], v[5:6]
	s_or_b64 s[16:17], vcc, s[16:17]
	s_andn2_b64 exec, exec, s[16:17]
	s_cbranch_execnz .LBB2_123
; %bb.124:
	s_or_b64 exec, exec, s[16:17]
.LBB2_125:
	s_or_b64 exec, exec, s[14:15]
.LBB2_126:
	s_or_b64 exec, exec, s[12:13]
	s_waitcnt vmcnt(0)
	v_mov_b32_e32 v2, 0
	global_load_dwordx2 v[10:11], v2, s[10:11] offset:40
	global_load_dwordx4 v[4:7], v2, s[10:11]
	v_readfirstlane_b32 s13, v9
	v_readfirstlane_b32 s12, v8
	s_mov_b64 s[14:15], exec
	s_waitcnt vmcnt(1)
	v_readfirstlane_b32 s16, v10
	v_readfirstlane_b32 s17, v11
	s_and_b64 s[16:17], s[16:17], s[12:13]
	s_mul_i32 s18, s17, 24
	s_mul_hi_u32 s19, s16, 24
	s_mul_i32 s20, s16, 24
	s_add_i32 s18, s19, s18
	v_mov_b32_e32 v3, s18
	s_waitcnt vmcnt(0)
	v_add_co_u32_e32 v8, vcc, s20, v4
	v_addc_co_u32_e32 v9, vcc, v5, v3, vcc
	s_and_saveexec_b64 s[18:19], s[2:3]
	s_cbranch_execz .LBB2_128
; %bb.127:
	v_mov_b32_e32 v10, s14
	v_mov_b32_e32 v11, s15
	;; [unrolled: 1-line block ×4, first 2 shown]
	global_store_dwordx4 v[8:9], v[10:13], off offset:8
.LBB2_128:
	s_or_b64 exec, exec, s[18:19]
	s_lshl_b64 s[14:15], s[16:17], 12
	v_mov_b32_e32 v3, s15
	v_add_co_u32_e32 v10, vcc, s14, v6
	v_addc_co_u32_e32 v11, vcc, v7, v3, vcc
	s_movk_i32 s14, 0xff1f
	v_and_or_b32 v0, v0, s14, 32
	s_mov_b32 s16, 0
	v_mov_b32_e32 v3, v2
	v_readfirstlane_b32 s14, v10
	v_readfirstlane_b32 s15, v11
	v_add_co_u32_e32 v6, vcc, v10, v30
	s_mov_b32 s17, s16
	s_mov_b32 s18, s16
	;; [unrolled: 1-line block ×3, first 2 shown]
	s_nop 0
	global_store_dwordx4 v30, v[0:3], s[14:15]
	v_addc_co_u32_e32 v7, vcc, 0, v11, vcc
	v_mov_b32_e32 v0, s16
	v_mov_b32_e32 v1, s17
	;; [unrolled: 1-line block ×4, first 2 shown]
	global_store_dwordx4 v30, v[0:3], s[14:15] offset:16
	global_store_dwordx4 v30, v[0:3], s[14:15] offset:32
	;; [unrolled: 1-line block ×3, first 2 shown]
	s_and_saveexec_b64 s[14:15], s[2:3]
	s_cbranch_execz .LBB2_136
; %bb.129:
	v_mov_b32_e32 v10, 0
	global_load_dwordx2 v[13:14], v10, s[10:11] offset:32 glc
	global_load_dwordx2 v[0:1], v10, s[10:11] offset:40
	v_mov_b32_e32 v11, s12
	v_mov_b32_e32 v12, s13
	s_waitcnt vmcnt(0)
	v_readfirstlane_b32 s16, v0
	v_readfirstlane_b32 s17, v1
	s_and_b64 s[16:17], s[16:17], s[12:13]
	s_mul_i32 s17, s17, 24
	s_mul_hi_u32 s18, s16, 24
	s_mul_i32 s16, s16, 24
	s_add_i32 s17, s18, s17
	v_mov_b32_e32 v0, s17
	v_add_co_u32_e32 v4, vcc, s16, v4
	v_addc_co_u32_e32 v5, vcc, v5, v0, vcc
	global_store_dwordx2 v[4:5], v[13:14], off
	s_waitcnt vmcnt(0)
	global_atomic_cmpswap_x2 v[2:3], v10, v[11:14], s[10:11] offset:32 glc
	s_waitcnt vmcnt(0)
	v_cmp_ne_u64_e32 vcc, v[2:3], v[13:14]
	s_and_saveexec_b64 s[16:17], vcc
	s_cbranch_execz .LBB2_132
; %bb.130:
	s_mov_b64 s[18:19], 0
.LBB2_131:                              ; =>This Inner Loop Header: Depth=1
	s_sleep 1
	global_store_dwordx2 v[4:5], v[2:3], off
	v_mov_b32_e32 v0, s12
	v_mov_b32_e32 v1, s13
	s_waitcnt vmcnt(0)
	global_atomic_cmpswap_x2 v[0:1], v10, v[0:3], s[10:11] offset:32 glc
	s_waitcnt vmcnt(0)
	v_cmp_eq_u64_e32 vcc, v[0:1], v[2:3]
	v_mov_b32_e32 v3, v1
	s_or_b64 s[18:19], vcc, s[18:19]
	v_mov_b32_e32 v2, v0
	s_andn2_b64 exec, exec, s[18:19]
	s_cbranch_execnz .LBB2_131
.LBB2_132:
	s_or_b64 exec, exec, s[16:17]
	v_mov_b32_e32 v3, 0
	global_load_dwordx2 v[0:1], v3, s[10:11] offset:16
	s_mov_b64 s[16:17], exec
	v_mbcnt_lo_u32_b32 v2, s16, 0
	v_mbcnt_hi_u32_b32 v2, s17, v2
	v_cmp_eq_u32_e32 vcc, 0, v2
	s_and_saveexec_b64 s[18:19], vcc
	s_cbranch_execz .LBB2_134
; %bb.133:
	s_bcnt1_i32_b64 s16, s[16:17]
	v_mov_b32_e32 v2, s16
	s_waitcnt vmcnt(0)
	global_atomic_add_x2 v[0:1], v[2:3], off offset:8
.LBB2_134:
	s_or_b64 exec, exec, s[18:19]
	s_waitcnt vmcnt(0)
	global_load_dwordx2 v[2:3], v[0:1], off offset:16
	s_waitcnt vmcnt(0)
	v_cmp_eq_u64_e32 vcc, 0, v[2:3]
	s_cbranch_vccnz .LBB2_136
; %bb.135:
	global_load_dword v0, v[0:1], off offset:24
	v_mov_b32_e32 v1, 0
	s_waitcnt vmcnt(0)
	v_readfirstlane_b32 s16, v0
	s_and_b32 m0, s16, 0xffffff
	global_store_dwordx2 v[2:3], v[0:1], off
	s_sendmsg sendmsg(MSG_INTERRUPT)
.LBB2_136:
	s_or_b64 exec, exec, s[14:15]
	s_branch .LBB2_140
.LBB2_137:                              ;   in Loop: Header=BB2_140 Depth=1
	s_or_b64 exec, exec, s[14:15]
	v_readfirstlane_b32 s14, v0
	s_cmp_eq_u32 s14, 0
	s_cbranch_scc1 .LBB2_139
; %bb.138:                              ;   in Loop: Header=BB2_140 Depth=1
	s_sleep 1
	s_cbranch_execnz .LBB2_140
	s_branch .LBB2_142
.LBB2_139:
	s_branch .LBB2_142
.LBB2_140:                              ; =>This Inner Loop Header: Depth=1
	v_mov_b32_e32 v0, 1
	s_and_saveexec_b64 s[14:15], s[2:3]
	s_cbranch_execz .LBB2_137
; %bb.141:                              ;   in Loop: Header=BB2_140 Depth=1
	global_load_dword v0, v[8:9], off offset:20 glc
	s_waitcnt vmcnt(0)
	buffer_wbinvl1_vol
	v_and_b32_e32 v0, 1, v0
	s_branch .LBB2_137
.LBB2_142:
	global_load_dwordx2 v[2:3], v[6:7], off
	s_and_saveexec_b64 s[14:15], s[2:3]
	s_cbranch_execz .LBB2_145
; %bb.143:
	v_mov_b32_e32 v8, 0
	global_load_dwordx2 v[0:1], v8, s[10:11] offset:40
	global_load_dwordx2 v[11:12], v8, s[10:11] offset:24 glc
	global_load_dwordx2 v[4:5], v8, s[10:11]
	s_waitcnt vmcnt(2)
	v_readfirstlane_b32 s16, v0
	v_readfirstlane_b32 s17, v1
	s_add_u32 s18, s16, 1
	s_addc_u32 s19, s17, 0
	s_add_u32 s2, s18, s12
	s_addc_u32 s3, s19, s13
	s_cmp_eq_u64 s[2:3], 0
	s_cselect_b32 s3, s19, s3
	s_cselect_b32 s2, s18, s2
	s_and_b64 s[12:13], s[2:3], s[16:17]
	s_mul_i32 s13, s13, 24
	s_mul_hi_u32 s16, s12, 24
	s_mul_i32 s12, s12, 24
	s_add_i32 s13, s16, s13
	v_mov_b32_e32 v1, s13
	s_waitcnt vmcnt(0)
	v_add_co_u32_e32 v0, vcc, s12, v4
	v_addc_co_u32_e32 v1, vcc, v5, v1, vcc
	v_mov_b32_e32 v9, s2
	global_store_dwordx2 v[0:1], v[11:12], off
	v_mov_b32_e32 v10, s3
	s_waitcnt vmcnt(0)
	global_atomic_cmpswap_x2 v[6:7], v8, v[9:12], s[10:11] offset:24 glc
	s_mov_b64 s[12:13], 0
	s_waitcnt vmcnt(0)
	v_cmp_ne_u64_e32 vcc, v[6:7], v[11:12]
	s_and_b64 exec, exec, vcc
	s_cbranch_execz .LBB2_145
.LBB2_144:                              ; =>This Inner Loop Header: Depth=1
	s_sleep 1
	global_store_dwordx2 v[0:1], v[6:7], off
	v_mov_b32_e32 v4, s2
	v_mov_b32_e32 v5, s3
	s_waitcnt vmcnt(0)
	global_atomic_cmpswap_x2 v[4:5], v8, v[4:7], s[10:11] offset:24 glc
	s_waitcnt vmcnt(0)
	v_cmp_eq_u64_e32 vcc, v[4:5], v[6:7]
	v_mov_b32_e32 v7, v5
	s_or_b64 s[12:13], vcc, s[12:13]
	v_mov_b32_e32 v6, v4
	s_andn2_b64 exec, exec, s[12:13]
	s_cbranch_execnz .LBB2_144
.LBB2_145:
	s_or_b64 exec, exec, s[14:15]
.LBB2_146:
	v_readfirstlane_b32 s2, v31
	s_waitcnt vmcnt(0)
	v_mov_b32_e32 v0, 0
	v_mov_b32_e32 v1, 0
	v_cmp_eq_u32_e64 s[2:3], s2, v31
	s_and_saveexec_b64 s[12:13], s[2:3]
	s_cbranch_execz .LBB2_152
; %bb.147:
	v_mov_b32_e32 v4, 0
	global_load_dwordx2 v[7:8], v4, s[10:11] offset:24 glc
	s_waitcnt vmcnt(0)
	buffer_wbinvl1_vol
	global_load_dwordx2 v[0:1], v4, s[10:11] offset:40
	global_load_dwordx2 v[5:6], v4, s[10:11]
	s_waitcnt vmcnt(1)
	v_and_b32_e32 v0, v0, v7
	v_and_b32_e32 v1, v1, v8
	v_mul_lo_u32 v1, v1, 24
	v_mul_hi_u32 v9, v0, 24
	v_mul_lo_u32 v0, v0, 24
	v_add_u32_e32 v1, v9, v1
	s_waitcnt vmcnt(0)
	v_add_co_u32_e32 v0, vcc, v5, v0
	v_addc_co_u32_e32 v1, vcc, v6, v1, vcc
	global_load_dwordx2 v[5:6], v[0:1], off glc
	s_waitcnt vmcnt(0)
	global_atomic_cmpswap_x2 v[0:1], v4, v[5:8], s[10:11] offset:24 glc
	s_waitcnt vmcnt(0)
	buffer_wbinvl1_vol
	v_cmp_ne_u64_e32 vcc, v[0:1], v[7:8]
	s_and_saveexec_b64 s[14:15], vcc
	s_cbranch_execz .LBB2_151
; %bb.148:
	s_mov_b64 s[16:17], 0
.LBB2_149:                              ; =>This Inner Loop Header: Depth=1
	s_sleep 1
	global_load_dwordx2 v[5:6], v4, s[10:11] offset:40
	global_load_dwordx2 v[9:10], v4, s[10:11]
	v_mov_b32_e32 v8, v1
	v_mov_b32_e32 v7, v0
	s_waitcnt vmcnt(1)
	v_and_b32_e32 v0, v5, v7
	s_waitcnt vmcnt(0)
	v_mad_u64_u32 v[0:1], s[18:19], v0, 24, v[9:10]
	v_and_b32_e32 v5, v6, v8
	v_mad_u64_u32 v[5:6], s[18:19], v5, 24, v[1:2]
	v_mov_b32_e32 v1, v5
	global_load_dwordx2 v[5:6], v[0:1], off glc
	s_waitcnt vmcnt(0)
	global_atomic_cmpswap_x2 v[0:1], v4, v[5:8], s[10:11] offset:24 glc
	s_waitcnt vmcnt(0)
	buffer_wbinvl1_vol
	v_cmp_eq_u64_e32 vcc, v[0:1], v[7:8]
	s_or_b64 s[16:17], vcc, s[16:17]
	s_andn2_b64 exec, exec, s[16:17]
	s_cbranch_execnz .LBB2_149
; %bb.150:
	s_or_b64 exec, exec, s[16:17]
.LBB2_151:
	s_or_b64 exec, exec, s[14:15]
.LBB2_152:
	s_or_b64 exec, exec, s[12:13]
	v_mov_b32_e32 v5, 0
	global_load_dwordx2 v[10:11], v5, s[10:11] offset:40
	global_load_dwordx4 v[6:9], v5, s[10:11]
	v_readfirstlane_b32 s13, v1
	v_readfirstlane_b32 s12, v0
	s_mov_b64 s[14:15], exec
	s_waitcnt vmcnt(1)
	v_readfirstlane_b32 s16, v10
	v_readfirstlane_b32 s17, v11
	s_and_b64 s[16:17], s[16:17], s[12:13]
	s_mul_i32 s18, s17, 24
	s_mul_hi_u32 s19, s16, 24
	s_mul_i32 s20, s16, 24
	s_add_i32 s18, s19, s18
	v_mov_b32_e32 v0, s18
	s_waitcnt vmcnt(0)
	v_add_co_u32_e32 v10, vcc, s20, v6
	v_addc_co_u32_e32 v11, vcc, v7, v0, vcc
	s_and_saveexec_b64 s[18:19], s[2:3]
	s_cbranch_execz .LBB2_154
; %bb.153:
	v_mov_b32_e32 v12, s14
	v_mov_b32_e32 v13, s15
	;; [unrolled: 1-line block ×4, first 2 shown]
	global_store_dwordx4 v[10:11], v[12:15], off offset:8
.LBB2_154:
	s_or_b64 exec, exec, s[18:19]
	s_lshl_b64 s[14:15], s[16:17], 12
	v_mov_b32_e32 v0, s15
	v_add_co_u32_e32 v1, vcc, s14, v8
	v_addc_co_u32_e32 v0, vcc, v9, v0, vcc
	s_add_i32 s20, s26, -1
	s_movk_i32 s14, 0xff1f
	s_mov_b32 s16, 0
	v_and_or_b32 v2, v2, s14, 32
	v_add_co_u32_e32 v8, vcc, v1, v30
	v_mov_b32_e32 v4, s20
	v_readfirstlane_b32 s14, v1
	v_readfirstlane_b32 s15, v0
	v_addc_co_u32_e32 v9, vcc, 0, v0, vcc
	s_mov_b32 s17, s16
	s_mov_b32 s18, s16
	;; [unrolled: 1-line block ×3, first 2 shown]
	s_nop 0
	global_store_dwordx4 v30, v[2:5], s[14:15]
	v_mov_b32_e32 v0, s16
	v_mov_b32_e32 v1, s17
	;; [unrolled: 1-line block ×4, first 2 shown]
	global_store_dwordx4 v30, v[0:3], s[14:15] offset:16
	global_store_dwordx4 v30, v[0:3], s[14:15] offset:32
	;; [unrolled: 1-line block ×3, first 2 shown]
	s_and_saveexec_b64 s[14:15], s[2:3]
	s_cbranch_execz .LBB2_162
; %bb.155:
	v_mov_b32_e32 v12, 0
	global_load_dwordx2 v[15:16], v12, s[10:11] offset:32 glc
	global_load_dwordx2 v[0:1], v12, s[10:11] offset:40
	v_mov_b32_e32 v13, s12
	v_mov_b32_e32 v14, s13
	s_waitcnt vmcnt(0)
	v_readfirstlane_b32 s16, v0
	v_readfirstlane_b32 s17, v1
	s_and_b64 s[16:17], s[16:17], s[12:13]
	s_mul_i32 s17, s17, 24
	s_mul_hi_u32 s18, s16, 24
	s_mul_i32 s16, s16, 24
	s_add_i32 s17, s18, s17
	v_mov_b32_e32 v0, s17
	v_add_co_u32_e32 v4, vcc, s16, v6
	v_addc_co_u32_e32 v5, vcc, v7, v0, vcc
	global_store_dwordx2 v[4:5], v[15:16], off
	s_waitcnt vmcnt(0)
	global_atomic_cmpswap_x2 v[2:3], v12, v[13:16], s[10:11] offset:32 glc
	s_waitcnt vmcnt(0)
	v_cmp_ne_u64_e32 vcc, v[2:3], v[15:16]
	s_and_saveexec_b64 s[16:17], vcc
	s_cbranch_execz .LBB2_158
; %bb.156:
	s_mov_b64 s[18:19], 0
.LBB2_157:                              ; =>This Inner Loop Header: Depth=1
	s_sleep 1
	global_store_dwordx2 v[4:5], v[2:3], off
	v_mov_b32_e32 v0, s12
	v_mov_b32_e32 v1, s13
	s_waitcnt vmcnt(0)
	global_atomic_cmpswap_x2 v[0:1], v12, v[0:3], s[10:11] offset:32 glc
	s_waitcnt vmcnt(0)
	v_cmp_eq_u64_e32 vcc, v[0:1], v[2:3]
	v_mov_b32_e32 v3, v1
	s_or_b64 s[18:19], vcc, s[18:19]
	v_mov_b32_e32 v2, v0
	s_andn2_b64 exec, exec, s[18:19]
	s_cbranch_execnz .LBB2_157
.LBB2_158:
	s_or_b64 exec, exec, s[16:17]
	v_mov_b32_e32 v3, 0
	global_load_dwordx2 v[0:1], v3, s[10:11] offset:16
	s_mov_b64 s[16:17], exec
	v_mbcnt_lo_u32_b32 v2, s16, 0
	v_mbcnt_hi_u32_b32 v2, s17, v2
	v_cmp_eq_u32_e32 vcc, 0, v2
	s_and_saveexec_b64 s[18:19], vcc
	s_cbranch_execz .LBB2_160
; %bb.159:
	s_bcnt1_i32_b64 s16, s[16:17]
	v_mov_b32_e32 v2, s16
	s_waitcnt vmcnt(0)
	global_atomic_add_x2 v[0:1], v[2:3], off offset:8
.LBB2_160:
	s_or_b64 exec, exec, s[18:19]
	s_waitcnt vmcnt(0)
	global_load_dwordx2 v[2:3], v[0:1], off offset:16
	s_waitcnt vmcnt(0)
	v_cmp_eq_u64_e32 vcc, 0, v[2:3]
	s_cbranch_vccnz .LBB2_162
; %bb.161:
	global_load_dword v0, v[0:1], off offset:24
	v_mov_b32_e32 v1, 0
	s_waitcnt vmcnt(0)
	v_readfirstlane_b32 s16, v0
	s_and_b32 m0, s16, 0xffffff
	global_store_dwordx2 v[2:3], v[0:1], off
	s_sendmsg sendmsg(MSG_INTERRUPT)
.LBB2_162:
	s_or_b64 exec, exec, s[14:15]
	s_branch .LBB2_166
.LBB2_163:                              ;   in Loop: Header=BB2_166 Depth=1
	s_or_b64 exec, exec, s[14:15]
	v_readfirstlane_b32 s14, v0
	s_cmp_eq_u32 s14, 0
	s_cbranch_scc1 .LBB2_165
; %bb.164:                              ;   in Loop: Header=BB2_166 Depth=1
	s_sleep 1
	s_cbranch_execnz .LBB2_166
	s_branch .LBB2_168
.LBB2_165:
	s_branch .LBB2_168
.LBB2_166:                              ; =>This Inner Loop Header: Depth=1
	v_mov_b32_e32 v0, 1
	s_and_saveexec_b64 s[14:15], s[2:3]
	s_cbranch_execz .LBB2_163
; %bb.167:                              ;   in Loop: Header=BB2_166 Depth=1
	global_load_dword v0, v[10:11], off offset:20 glc
	s_waitcnt vmcnt(0)
	buffer_wbinvl1_vol
	v_and_b32_e32 v0, 1, v0
	s_branch .LBB2_163
.LBB2_168:
	global_load_dwordx2 v[0:1], v[8:9], off
	s_and_saveexec_b64 s[14:15], s[2:3]
	s_cbranch_execz .LBB2_171
; %bb.169:
	v_mov_b32_e32 v8, 0
	global_load_dwordx2 v[2:3], v8, s[10:11] offset:40
	global_load_dwordx2 v[11:12], v8, s[10:11] offset:24 glc
	global_load_dwordx2 v[4:5], v8, s[10:11]
	s_waitcnt vmcnt(2)
	v_readfirstlane_b32 s16, v2
	v_readfirstlane_b32 s17, v3
	s_add_u32 s18, s16, 1
	s_addc_u32 s19, s17, 0
	s_add_u32 s2, s18, s12
	s_addc_u32 s3, s19, s13
	s_cmp_eq_u64 s[2:3], 0
	s_cselect_b32 s3, s19, s3
	s_cselect_b32 s2, s18, s2
	s_and_b64 s[12:13], s[2:3], s[16:17]
	s_mul_i32 s13, s13, 24
	s_mul_hi_u32 s16, s12, 24
	s_mul_i32 s12, s12, 24
	s_add_i32 s13, s16, s13
	v_mov_b32_e32 v2, s13
	s_waitcnt vmcnt(0)
	v_add_co_u32_e32 v6, vcc, s12, v4
	v_addc_co_u32_e32 v7, vcc, v5, v2, vcc
	v_mov_b32_e32 v9, s2
	global_store_dwordx2 v[6:7], v[11:12], off
	v_mov_b32_e32 v10, s3
	s_waitcnt vmcnt(0)
	global_atomic_cmpswap_x2 v[4:5], v8, v[9:12], s[10:11] offset:24 glc
	s_mov_b64 s[12:13], 0
	s_waitcnt vmcnt(0)
	v_cmp_ne_u64_e32 vcc, v[4:5], v[11:12]
	s_and_b64 exec, exec, vcc
	s_cbranch_execz .LBB2_171
.LBB2_170:                              ; =>This Inner Loop Header: Depth=1
	s_sleep 1
	global_store_dwordx2 v[6:7], v[4:5], off
	v_mov_b32_e32 v2, s2
	v_mov_b32_e32 v3, s3
	s_waitcnt vmcnt(0)
	global_atomic_cmpswap_x2 v[2:3], v8, v[2:5], s[10:11] offset:24 glc
	s_waitcnt vmcnt(0)
	v_cmp_eq_u64_e32 vcc, v[2:3], v[4:5]
	v_mov_b32_e32 v5, v3
	s_or_b64 s[12:13], vcc, s[12:13]
	v_mov_b32_e32 v4, v2
	s_andn2_b64 exec, exec, s[12:13]
	s_cbranch_execnz .LBB2_170
.LBB2_171:
	s_or_b64 exec, exec, s[14:15]
	v_readfirstlane_b32 s2, v31
	v_mov_b32_e32 v8, 0
	v_mov_b32_e32 v9, 0
	v_cmp_eq_u32_e64 s[2:3], s2, v31
	s_and_saveexec_b64 s[12:13], s[2:3]
	s_cbranch_execz .LBB2_177
; %bb.172:
	v_mov_b32_e32 v2, 0
	global_load_dwordx2 v[5:6], v2, s[10:11] offset:24 glc
	s_waitcnt vmcnt(0)
	buffer_wbinvl1_vol
	global_load_dwordx2 v[3:4], v2, s[10:11] offset:40
	global_load_dwordx2 v[7:8], v2, s[10:11]
	s_waitcnt vmcnt(1)
	v_and_b32_e32 v3, v3, v5
	v_and_b32_e32 v4, v4, v6
	v_mul_lo_u32 v4, v4, 24
	v_mul_hi_u32 v9, v3, 24
	v_mul_lo_u32 v3, v3, 24
	v_add_u32_e32 v4, v9, v4
	s_waitcnt vmcnt(0)
	v_add_co_u32_e32 v3, vcc, v7, v3
	v_addc_co_u32_e32 v4, vcc, v8, v4, vcc
	global_load_dwordx2 v[3:4], v[3:4], off glc
	s_waitcnt vmcnt(0)
	global_atomic_cmpswap_x2 v[8:9], v2, v[3:6], s[10:11] offset:24 glc
	s_waitcnt vmcnt(0)
	buffer_wbinvl1_vol
	v_cmp_ne_u64_e32 vcc, v[8:9], v[5:6]
	s_and_saveexec_b64 s[14:15], vcc
	s_cbranch_execz .LBB2_176
; %bb.173:
	s_mov_b64 s[16:17], 0
.LBB2_174:                              ; =>This Inner Loop Header: Depth=1
	s_sleep 1
	global_load_dwordx2 v[3:4], v2, s[10:11] offset:40
	global_load_dwordx2 v[10:11], v2, s[10:11]
	v_mov_b32_e32 v5, v8
	v_mov_b32_e32 v6, v9
	s_waitcnt vmcnt(1)
	v_and_b32_e32 v3, v3, v5
	s_waitcnt vmcnt(0)
	v_mad_u64_u32 v[7:8], s[18:19], v3, 24, v[10:11]
	v_and_b32_e32 v4, v4, v6
	v_mov_b32_e32 v3, v8
	v_mad_u64_u32 v[3:4], s[18:19], v4, 24, v[3:4]
	v_mov_b32_e32 v8, v3
	global_load_dwordx2 v[3:4], v[7:8], off glc
	s_waitcnt vmcnt(0)
	global_atomic_cmpswap_x2 v[8:9], v2, v[3:6], s[10:11] offset:24 glc
	s_waitcnt vmcnt(0)
	buffer_wbinvl1_vol
	v_cmp_eq_u64_e32 vcc, v[8:9], v[5:6]
	s_or_b64 s[16:17], vcc, s[16:17]
	s_andn2_b64 exec, exec, s[16:17]
	s_cbranch_execnz .LBB2_174
; %bb.175:
	s_or_b64 exec, exec, s[16:17]
.LBB2_176:
	s_or_b64 exec, exec, s[14:15]
.LBB2_177:
	s_or_b64 exec, exec, s[12:13]
	v_mov_b32_e32 v3, 0
	global_load_dwordx2 v[10:11], v3, s[10:11] offset:40
	global_load_dwordx4 v[4:7], v3, s[10:11]
	v_readfirstlane_b32 s13, v9
	v_readfirstlane_b32 s12, v8
	s_mov_b64 s[14:15], exec
	s_waitcnt vmcnt(1)
	v_readfirstlane_b32 s16, v10
	v_readfirstlane_b32 s17, v11
	s_and_b64 s[16:17], s[16:17], s[12:13]
	s_mul_i32 s18, s17, 24
	s_mul_hi_u32 s19, s16, 24
	s_mul_i32 s21, s16, 24
	s_add_i32 s18, s19, s18
	v_mov_b32_e32 v2, s18
	s_waitcnt vmcnt(0)
	v_add_co_u32_e32 v8, vcc, s21, v4
	v_addc_co_u32_e32 v9, vcc, v5, v2, vcc
	s_and_saveexec_b64 s[18:19], s[2:3]
	s_cbranch_execz .LBB2_179
; %bb.178:
	v_mov_b32_e32 v10, s14
	v_mov_b32_e32 v11, s15
	;; [unrolled: 1-line block ×4, first 2 shown]
	global_store_dwordx4 v[8:9], v[10:13], off offset:8
.LBB2_179:
	s_or_b64 exec, exec, s[18:19]
	s_lshl_b64 s[14:15], s[16:17], 12
	v_mov_b32_e32 v2, s15
	v_add_co_u32_e32 v10, vcc, s14, v6
	v_addc_co_u32_e32 v11, vcc, v7, v2, vcc
	v_cndmask_b32_e64 v2, -1, v32, s[0:1]
	s_movk_i32 s0, 0xff1f
	v_and_or_b32 v0, v0, s0, 32
	v_readfirstlane_b32 s0, v10
	v_readfirstlane_b32 s1, v11
	s_mov_b32 s16, 0
	v_add_co_u32_e32 v6, vcc, v10, v30
	s_mov_b32 s17, s16
	s_mov_b32 s18, s16
	s_nop 0
	global_store_dwordx4 v30, v[0:3], s[0:1]
	s_mov_b32 s19, s16
	v_mov_b32_e32 v0, s16
	v_addc_co_u32_e32 v7, vcc, 0, v11, vcc
	v_mov_b32_e32 v1, s17
	v_mov_b32_e32 v2, s18
	;; [unrolled: 1-line block ×3, first 2 shown]
	global_store_dwordx4 v30, v[0:3], s[0:1] offset:16
	global_store_dwordx4 v30, v[0:3], s[0:1] offset:32
	;; [unrolled: 1-line block ×3, first 2 shown]
	s_and_saveexec_b64 s[0:1], s[2:3]
	s_cbranch_execz .LBB2_187
; %bb.180:
	v_mov_b32_e32 v10, 0
	global_load_dwordx2 v[13:14], v10, s[10:11] offset:32 glc
	global_load_dwordx2 v[0:1], v10, s[10:11] offset:40
	v_mov_b32_e32 v11, s12
	v_mov_b32_e32 v12, s13
	s_waitcnt vmcnt(0)
	v_readfirstlane_b32 s14, v0
	v_readfirstlane_b32 s15, v1
	s_and_b64 s[14:15], s[14:15], s[12:13]
	s_mul_i32 s15, s15, 24
	s_mul_hi_u32 s16, s14, 24
	s_mul_i32 s14, s14, 24
	s_add_i32 s15, s16, s15
	v_mov_b32_e32 v0, s15
	v_add_co_u32_e32 v4, vcc, s14, v4
	v_addc_co_u32_e32 v5, vcc, v5, v0, vcc
	global_store_dwordx2 v[4:5], v[13:14], off
	s_waitcnt vmcnt(0)
	global_atomic_cmpswap_x2 v[2:3], v10, v[11:14], s[10:11] offset:32 glc
	s_waitcnt vmcnt(0)
	v_cmp_ne_u64_e32 vcc, v[2:3], v[13:14]
	s_and_saveexec_b64 s[14:15], vcc
	s_cbranch_execz .LBB2_183
; %bb.181:
	s_mov_b64 s[16:17], 0
.LBB2_182:                              ; =>This Inner Loop Header: Depth=1
	s_sleep 1
	global_store_dwordx2 v[4:5], v[2:3], off
	v_mov_b32_e32 v0, s12
	v_mov_b32_e32 v1, s13
	s_waitcnt vmcnt(0)
	global_atomic_cmpswap_x2 v[0:1], v10, v[0:3], s[10:11] offset:32 glc
	s_waitcnt vmcnt(0)
	v_cmp_eq_u64_e32 vcc, v[0:1], v[2:3]
	v_mov_b32_e32 v3, v1
	s_or_b64 s[16:17], vcc, s[16:17]
	v_mov_b32_e32 v2, v0
	s_andn2_b64 exec, exec, s[16:17]
	s_cbranch_execnz .LBB2_182
.LBB2_183:
	s_or_b64 exec, exec, s[14:15]
	v_mov_b32_e32 v3, 0
	global_load_dwordx2 v[0:1], v3, s[10:11] offset:16
	s_mov_b64 s[14:15], exec
	v_mbcnt_lo_u32_b32 v2, s14, 0
	v_mbcnt_hi_u32_b32 v2, s15, v2
	v_cmp_eq_u32_e32 vcc, 0, v2
	s_and_saveexec_b64 s[16:17], vcc
	s_cbranch_execz .LBB2_185
; %bb.184:
	s_bcnt1_i32_b64 s14, s[14:15]
	v_mov_b32_e32 v2, s14
	s_waitcnt vmcnt(0)
	global_atomic_add_x2 v[0:1], v[2:3], off offset:8
.LBB2_185:
	s_or_b64 exec, exec, s[16:17]
	s_waitcnt vmcnt(0)
	global_load_dwordx2 v[2:3], v[0:1], off offset:16
	s_waitcnt vmcnt(0)
	v_cmp_eq_u64_e32 vcc, 0, v[2:3]
	s_cbranch_vccnz .LBB2_187
; %bb.186:
	global_load_dword v0, v[0:1], off offset:24
	v_mov_b32_e32 v1, 0
	s_waitcnt vmcnt(0)
	v_readfirstlane_b32 s14, v0
	s_and_b32 m0, s14, 0xffffff
	global_store_dwordx2 v[2:3], v[0:1], off
	s_sendmsg sendmsg(MSG_INTERRUPT)
.LBB2_187:
	s_or_b64 exec, exec, s[0:1]
	s_branch .LBB2_191
.LBB2_188:                              ;   in Loop: Header=BB2_191 Depth=1
	s_or_b64 exec, exec, s[0:1]
	v_readfirstlane_b32 s0, v0
	s_cmp_eq_u32 s0, 0
	s_cbranch_scc1 .LBB2_190
; %bb.189:                              ;   in Loop: Header=BB2_191 Depth=1
	s_sleep 1
	s_cbranch_execnz .LBB2_191
	s_branch .LBB2_193
.LBB2_190:
	s_branch .LBB2_193
.LBB2_191:                              ; =>This Inner Loop Header: Depth=1
	v_mov_b32_e32 v0, 1
	s_and_saveexec_b64 s[0:1], s[2:3]
	s_cbranch_execz .LBB2_188
; %bb.192:                              ;   in Loop: Header=BB2_191 Depth=1
	global_load_dword v0, v[8:9], off offset:20 glc
	s_waitcnt vmcnt(0)
	buffer_wbinvl1_vol
	v_and_b32_e32 v0, 1, v0
	s_branch .LBB2_188
.LBB2_193:
	global_load_dwordx2 v[0:1], v[6:7], off
	s_and_saveexec_b64 s[0:1], s[2:3]
	s_cbranch_execz .LBB2_196
; %bb.194:
	v_mov_b32_e32 v8, 0
	global_load_dwordx2 v[2:3], v8, s[10:11] offset:40
	global_load_dwordx2 v[11:12], v8, s[10:11] offset:24 glc
	global_load_dwordx2 v[4:5], v8, s[10:11]
	s_waitcnt vmcnt(2)
	v_readfirstlane_b32 s14, v2
	v_readfirstlane_b32 s15, v3
	s_add_u32 s16, s14, 1
	s_addc_u32 s17, s15, 0
	s_add_u32 s2, s16, s12
	s_addc_u32 s3, s17, s13
	s_cmp_eq_u64 s[2:3], 0
	s_cselect_b32 s3, s17, s3
	s_cselect_b32 s2, s16, s2
	s_and_b64 s[12:13], s[2:3], s[14:15]
	s_mul_i32 s13, s13, 24
	s_mul_hi_u32 s14, s12, 24
	s_mul_i32 s12, s12, 24
	s_add_i32 s13, s14, s13
	v_mov_b32_e32 v2, s13
	s_waitcnt vmcnt(0)
	v_add_co_u32_e32 v6, vcc, s12, v4
	v_addc_co_u32_e32 v7, vcc, v5, v2, vcc
	v_mov_b32_e32 v9, s2
	global_store_dwordx2 v[6:7], v[11:12], off
	v_mov_b32_e32 v10, s3
	s_waitcnt vmcnt(0)
	global_atomic_cmpswap_x2 v[4:5], v8, v[9:12], s[10:11] offset:24 glc
	s_mov_b64 s[12:13], 0
	s_waitcnt vmcnt(0)
	v_cmp_ne_u64_e32 vcc, v[4:5], v[11:12]
	s_and_b64 exec, exec, vcc
	s_cbranch_execz .LBB2_196
.LBB2_195:                              ; =>This Inner Loop Header: Depth=1
	s_sleep 1
	global_store_dwordx2 v[6:7], v[4:5], off
	v_mov_b32_e32 v2, s2
	v_mov_b32_e32 v3, s3
	s_waitcnt vmcnt(0)
	global_atomic_cmpswap_x2 v[2:3], v8, v[2:5], s[10:11] offset:24 glc
	s_waitcnt vmcnt(0)
	v_cmp_eq_u64_e32 vcc, v[2:3], v[4:5]
	v_mov_b32_e32 v5, v3
	s_or_b64 s[12:13], vcc, s[12:13]
	v_mov_b32_e32 v4, v2
	s_andn2_b64 exec, exec, s[12:13]
	s_cbranch_execnz .LBB2_195
.LBB2_196:
	s_or_b64 exec, exec, s[0:1]
	v_readfirstlane_b32 s0, v31
	v_mov_b32_e32 v8, 0
	v_mov_b32_e32 v9, 0
	v_cmp_eq_u32_e64 s[0:1], s0, v31
	s_and_saveexec_b64 s[2:3], s[0:1]
	s_cbranch_execz .LBB2_202
; %bb.197:
	v_mov_b32_e32 v2, 0
	global_load_dwordx2 v[5:6], v2, s[10:11] offset:24 glc
	s_waitcnt vmcnt(0)
	buffer_wbinvl1_vol
	global_load_dwordx2 v[3:4], v2, s[10:11] offset:40
	global_load_dwordx2 v[7:8], v2, s[10:11]
	s_waitcnt vmcnt(1)
	v_and_b32_e32 v3, v3, v5
	v_and_b32_e32 v4, v4, v6
	v_mul_lo_u32 v4, v4, 24
	v_mul_hi_u32 v9, v3, 24
	v_mul_lo_u32 v3, v3, 24
	v_add_u32_e32 v4, v9, v4
	s_waitcnt vmcnt(0)
	v_add_co_u32_e32 v3, vcc, v7, v3
	v_addc_co_u32_e32 v4, vcc, v8, v4, vcc
	global_load_dwordx2 v[3:4], v[3:4], off glc
	s_waitcnt vmcnt(0)
	global_atomic_cmpswap_x2 v[8:9], v2, v[3:6], s[10:11] offset:24 glc
	s_waitcnt vmcnt(0)
	buffer_wbinvl1_vol
	v_cmp_ne_u64_e32 vcc, v[8:9], v[5:6]
	s_and_saveexec_b64 s[12:13], vcc
	s_cbranch_execz .LBB2_201
; %bb.198:
	s_mov_b64 s[14:15], 0
.LBB2_199:                              ; =>This Inner Loop Header: Depth=1
	s_sleep 1
	global_load_dwordx2 v[3:4], v2, s[10:11] offset:40
	global_load_dwordx2 v[10:11], v2, s[10:11]
	v_mov_b32_e32 v5, v8
	v_mov_b32_e32 v6, v9
	s_waitcnt vmcnt(1)
	v_and_b32_e32 v3, v3, v5
	s_waitcnt vmcnt(0)
	v_mad_u64_u32 v[7:8], s[16:17], v3, 24, v[10:11]
	v_and_b32_e32 v4, v4, v6
	v_mov_b32_e32 v3, v8
	v_mad_u64_u32 v[3:4], s[16:17], v4, 24, v[3:4]
	v_mov_b32_e32 v8, v3
	global_load_dwordx2 v[3:4], v[7:8], off glc
	s_waitcnt vmcnt(0)
	global_atomic_cmpswap_x2 v[8:9], v2, v[3:6], s[10:11] offset:24 glc
	s_waitcnt vmcnt(0)
	buffer_wbinvl1_vol
	v_cmp_eq_u64_e32 vcc, v[8:9], v[5:6]
	s_or_b64 s[14:15], vcc, s[14:15]
	s_andn2_b64 exec, exec, s[14:15]
	s_cbranch_execnz .LBB2_199
; %bb.200:
	s_or_b64 exec, exec, s[14:15]
.LBB2_201:
	s_or_b64 exec, exec, s[12:13]
.LBB2_202:
	s_or_b64 exec, exec, s[2:3]
	v_mov_b32_e32 v3, 0
	global_load_dwordx2 v[10:11], v3, s[10:11] offset:40
	global_load_dwordx4 v[4:7], v3, s[10:11]
	v_readfirstlane_b32 s3, v9
	v_readfirstlane_b32 s2, v8
	s_mov_b64 s[12:13], exec
	s_waitcnt vmcnt(1)
	v_readfirstlane_b32 s14, v10
	v_readfirstlane_b32 s15, v11
	s_and_b64 s[14:15], s[14:15], s[2:3]
	s_mul_i32 s16, s15, 24
	s_mul_hi_u32 s17, s14, 24
	s_mul_i32 s18, s14, 24
	s_add_i32 s16, s17, s16
	v_mov_b32_e32 v2, s16
	s_waitcnt vmcnt(0)
	v_add_co_u32_e32 v8, vcc, s18, v4
	v_addc_co_u32_e32 v9, vcc, v5, v2, vcc
	s_and_saveexec_b64 s[16:17], s[0:1]
	s_cbranch_execz .LBB2_204
; %bb.203:
	v_mov_b32_e32 v10, s12
	v_mov_b32_e32 v11, s13
	;; [unrolled: 1-line block ×4, first 2 shown]
	global_store_dwordx4 v[8:9], v[10:13], off offset:8
.LBB2_204:
	s_or_b64 exec, exec, s[16:17]
	s_lshl_b64 s[12:13], s[14:15], 12
	v_mov_b32_e32 v2, s13
	v_add_co_u32_e32 v6, vcc, s12, v6
	s_mul_i32 s20, s20, s26
	v_addc_co_u32_e32 v7, vcc, v7, v2, vcc
	s_lshr_b32 s13, s20, 1
	s_movk_i32 s14, 0xff1d
	s_mov_b32 s12, 0
	v_and_or_b32 v0, v0, s14, 34
	v_mov_b32_e32 v2, s13
	v_readfirstlane_b32 s16, v6
	v_readfirstlane_b32 s17, v7
	s_mov_b32 s13, s12
	s_mov_b32 s14, s12
	;; [unrolled: 1-line block ×3, first 2 shown]
	s_nop 1
	global_store_dwordx4 v30, v[0:3], s[16:17]
	s_nop 0
	v_mov_b32_e32 v0, s12
	v_mov_b32_e32 v1, s13
	;; [unrolled: 1-line block ×4, first 2 shown]
	global_store_dwordx4 v30, v[0:3], s[16:17] offset:16
	global_store_dwordx4 v30, v[0:3], s[16:17] offset:32
	;; [unrolled: 1-line block ×3, first 2 shown]
	s_and_saveexec_b64 s[12:13], s[0:1]
	s_cbranch_execz .LBB2_212
; %bb.205:
	v_mov_b32_e32 v6, 0
	global_load_dwordx2 v[12:13], v6, s[10:11] offset:32 glc
	global_load_dwordx2 v[0:1], v6, s[10:11] offset:40
	v_mov_b32_e32 v10, s2
	v_mov_b32_e32 v11, s3
	s_waitcnt vmcnt(0)
	v_readfirstlane_b32 s14, v0
	v_readfirstlane_b32 s15, v1
	s_and_b64 s[14:15], s[14:15], s[2:3]
	s_mul_i32 s15, s15, 24
	s_mul_hi_u32 s16, s14, 24
	s_mul_i32 s14, s14, 24
	s_add_i32 s15, s16, s15
	v_mov_b32_e32 v0, s15
	v_add_co_u32_e32 v4, vcc, s14, v4
	v_addc_co_u32_e32 v5, vcc, v5, v0, vcc
	global_store_dwordx2 v[4:5], v[12:13], off
	s_waitcnt vmcnt(0)
	global_atomic_cmpswap_x2 v[2:3], v6, v[10:13], s[10:11] offset:32 glc
	s_waitcnt vmcnt(0)
	v_cmp_ne_u64_e32 vcc, v[2:3], v[12:13]
	s_and_saveexec_b64 s[14:15], vcc
	s_cbranch_execz .LBB2_208
; %bb.206:
	s_mov_b64 s[16:17], 0
.LBB2_207:                              ; =>This Inner Loop Header: Depth=1
	s_sleep 1
	global_store_dwordx2 v[4:5], v[2:3], off
	v_mov_b32_e32 v0, s2
	v_mov_b32_e32 v1, s3
	s_waitcnt vmcnt(0)
	global_atomic_cmpswap_x2 v[0:1], v6, v[0:3], s[10:11] offset:32 glc
	s_waitcnt vmcnt(0)
	v_cmp_eq_u64_e32 vcc, v[0:1], v[2:3]
	v_mov_b32_e32 v3, v1
	s_or_b64 s[16:17], vcc, s[16:17]
	v_mov_b32_e32 v2, v0
	s_andn2_b64 exec, exec, s[16:17]
	s_cbranch_execnz .LBB2_207
.LBB2_208:
	s_or_b64 exec, exec, s[14:15]
	v_mov_b32_e32 v3, 0
	global_load_dwordx2 v[0:1], v3, s[10:11] offset:16
	s_mov_b64 s[14:15], exec
	v_mbcnt_lo_u32_b32 v2, s14, 0
	v_mbcnt_hi_u32_b32 v2, s15, v2
	v_cmp_eq_u32_e32 vcc, 0, v2
	s_and_saveexec_b64 s[16:17], vcc
	s_cbranch_execz .LBB2_210
; %bb.209:
	s_bcnt1_i32_b64 s14, s[14:15]
	v_mov_b32_e32 v2, s14
	s_waitcnt vmcnt(0)
	global_atomic_add_x2 v[0:1], v[2:3], off offset:8
.LBB2_210:
	s_or_b64 exec, exec, s[16:17]
	s_waitcnt vmcnt(0)
	global_load_dwordx2 v[2:3], v[0:1], off offset:16
	s_waitcnt vmcnt(0)
	v_cmp_eq_u64_e32 vcc, 0, v[2:3]
	s_cbranch_vccnz .LBB2_212
; %bb.211:
	global_load_dword v0, v[0:1], off offset:24
	v_mov_b32_e32 v1, 0
	s_waitcnt vmcnt(0)
	v_readfirstlane_b32 s14, v0
	s_and_b32 m0, s14, 0xffffff
	global_store_dwordx2 v[2:3], v[0:1], off
	s_sendmsg sendmsg(MSG_INTERRUPT)
.LBB2_212:
	s_or_b64 exec, exec, s[12:13]
	s_branch .LBB2_216
.LBB2_213:                              ;   in Loop: Header=BB2_216 Depth=1
	s_or_b64 exec, exec, s[12:13]
	v_readfirstlane_b32 s12, v0
	s_cmp_eq_u32 s12, 0
	s_cbranch_scc1 .LBB2_215
; %bb.214:                              ;   in Loop: Header=BB2_216 Depth=1
	s_sleep 1
	s_cbranch_execnz .LBB2_216
	s_branch .LBB2_218
.LBB2_215:
	s_branch .LBB2_218
.LBB2_216:                              ; =>This Inner Loop Header: Depth=1
	v_mov_b32_e32 v0, 1
	s_and_saveexec_b64 s[12:13], s[0:1]
	s_cbranch_execz .LBB2_213
; %bb.217:                              ;   in Loop: Header=BB2_216 Depth=1
	global_load_dword v0, v[8:9], off offset:20 glc
	s_waitcnt vmcnt(0)
	buffer_wbinvl1_vol
	v_and_b32_e32 v0, 1, v0
	s_branch .LBB2_213
.LBB2_218:
	s_and_saveexec_b64 s[12:13], s[0:1]
	s_cbranch_execz .LBB2_221
; %bb.219:
	v_mov_b32_e32 v6, 0
	global_load_dwordx2 v[0:1], v6, s[10:11] offset:40
	global_load_dwordx2 v[9:10], v6, s[10:11] offset:24 glc
	global_load_dwordx2 v[2:3], v6, s[10:11]
	s_waitcnt vmcnt(2)
	v_readfirstlane_b32 s14, v0
	v_readfirstlane_b32 s15, v1
	s_add_u32 s16, s14, 1
	s_addc_u32 s17, s15, 0
	s_add_u32 s0, s16, s2
	s_addc_u32 s1, s17, s3
	s_cmp_eq_u64 s[0:1], 0
	s_cselect_b32 s1, s17, s1
	s_cselect_b32 s0, s16, s0
	s_and_b64 s[2:3], s[0:1], s[14:15]
	s_mul_i32 s3, s3, 24
	s_mul_hi_u32 s14, s2, 24
	s_mul_i32 s2, s2, 24
	s_add_i32 s3, s14, s3
	v_mov_b32_e32 v0, s3
	s_waitcnt vmcnt(0)
	v_add_co_u32_e32 v4, vcc, s2, v2
	v_addc_co_u32_e32 v5, vcc, v3, v0, vcc
	v_mov_b32_e32 v7, s0
	global_store_dwordx2 v[4:5], v[9:10], off
	v_mov_b32_e32 v8, s1
	s_waitcnt vmcnt(0)
	global_atomic_cmpswap_x2 v[2:3], v6, v[7:10], s[10:11] offset:24 glc
	s_mov_b64 s[2:3], 0
	s_waitcnt vmcnt(0)
	v_cmp_ne_u64_e32 vcc, v[2:3], v[9:10]
	s_and_b64 exec, exec, vcc
	s_cbranch_execz .LBB2_221
.LBB2_220:                              ; =>This Inner Loop Header: Depth=1
	s_sleep 1
	global_store_dwordx2 v[4:5], v[2:3], off
	v_mov_b32_e32 v0, s0
	v_mov_b32_e32 v1, s1
	s_waitcnt vmcnt(0)
	global_atomic_cmpswap_x2 v[0:1], v6, v[0:3], s[10:11] offset:24 glc
	s_waitcnt vmcnt(0)
	v_cmp_eq_u64_e32 vcc, v[0:1], v[2:3]
	v_mov_b32_e32 v3, v1
	s_or_b64 s[2:3], vcc, s[2:3]
	v_mov_b32_e32 v2, v0
	s_andn2_b64 exec, exec, s[2:3]
	s_cbranch_execnz .LBB2_220
.LBB2_221:
	s_or_b64 exec, exec, s[12:13]
	v_readfirstlane_b32 s0, v31
	v_mov_b32_e32 v5, 0
	v_mov_b32_e32 v6, 0
	v_cmp_eq_u32_e64 s[0:1], s0, v31
	s_and_saveexec_b64 s[2:3], s[0:1]
	s_cbranch_execz .LBB2_227
; %bb.222:
	v_mov_b32_e32 v0, 0
	global_load_dwordx2 v[3:4], v0, s[10:11] offset:24 glc
	s_waitcnt vmcnt(0)
	buffer_wbinvl1_vol
	global_load_dwordx2 v[1:2], v0, s[10:11] offset:40
	global_load_dwordx2 v[5:6], v0, s[10:11]
	s_waitcnt vmcnt(1)
	v_and_b32_e32 v1, v1, v3
	v_and_b32_e32 v2, v2, v4
	v_mul_lo_u32 v2, v2, 24
	v_mul_hi_u32 v7, v1, 24
	v_mul_lo_u32 v1, v1, 24
	v_add_u32_e32 v2, v7, v2
	s_waitcnt vmcnt(0)
	v_add_co_u32_e32 v1, vcc, v5, v1
	v_addc_co_u32_e32 v2, vcc, v6, v2, vcc
	global_load_dwordx2 v[1:2], v[1:2], off glc
	s_waitcnt vmcnt(0)
	global_atomic_cmpswap_x2 v[5:6], v0, v[1:4], s[10:11] offset:24 glc
	s_waitcnt vmcnt(0)
	buffer_wbinvl1_vol
	v_cmp_ne_u64_e32 vcc, v[5:6], v[3:4]
	s_and_saveexec_b64 s[12:13], vcc
	s_cbranch_execz .LBB2_226
; %bb.223:
	s_mov_b64 s[14:15], 0
.LBB2_224:                              ; =>This Inner Loop Header: Depth=1
	s_sleep 1
	global_load_dwordx2 v[1:2], v0, s[10:11] offset:40
	global_load_dwordx2 v[7:8], v0, s[10:11]
	v_mov_b32_e32 v3, v5
	v_mov_b32_e32 v4, v6
	s_waitcnt vmcnt(1)
	v_and_b32_e32 v1, v1, v3
	s_waitcnt vmcnt(0)
	v_mad_u64_u32 v[5:6], s[16:17], v1, 24, v[7:8]
	v_and_b32_e32 v2, v2, v4
	v_mov_b32_e32 v1, v6
	v_mad_u64_u32 v[1:2], s[16:17], v2, 24, v[1:2]
	v_mov_b32_e32 v6, v1
	global_load_dwordx2 v[1:2], v[5:6], off glc
	s_waitcnt vmcnt(0)
	global_atomic_cmpswap_x2 v[5:6], v0, v[1:4], s[10:11] offset:24 glc
	s_waitcnt vmcnt(0)
	buffer_wbinvl1_vol
	v_cmp_eq_u64_e32 vcc, v[5:6], v[3:4]
	s_or_b64 s[14:15], vcc, s[14:15]
	s_andn2_b64 exec, exec, s[14:15]
	s_cbranch_execnz .LBB2_224
; %bb.225:
	s_or_b64 exec, exec, s[14:15]
.LBB2_226:
	s_or_b64 exec, exec, s[12:13]
.LBB2_227:
	s_or_b64 exec, exec, s[2:3]
	v_mov_b32_e32 v4, 0
	global_load_dwordx2 v[7:8], v4, s[10:11] offset:40
	global_load_dwordx4 v[0:3], v4, s[10:11]
	v_readfirstlane_b32 s3, v6
	v_readfirstlane_b32 s2, v5
	s_mov_b64 s[12:13], exec
	s_waitcnt vmcnt(1)
	v_readfirstlane_b32 s14, v7
	v_readfirstlane_b32 s15, v8
	s_and_b64 s[14:15], s[14:15], s[2:3]
	s_mul_i32 s16, s15, 24
	s_mul_hi_u32 s17, s14, 24
	s_mul_i32 s18, s14, 24
	s_add_i32 s16, s17, s16
	v_mov_b32_e32 v5, s16
	s_waitcnt vmcnt(0)
	v_add_co_u32_e32 v7, vcc, s18, v0
	v_addc_co_u32_e32 v8, vcc, v1, v5, vcc
	s_and_saveexec_b64 s[16:17], s[0:1]
	s_cbranch_execz .LBB2_229
; %bb.228:
	v_mov_b32_e32 v9, s12
	v_mov_b32_e32 v10, s13
	;; [unrolled: 1-line block ×4, first 2 shown]
	global_store_dwordx4 v[7:8], v[9:12], off offset:8
.LBB2_229:
	s_or_b64 exec, exec, s[16:17]
	s_lshl_b64 s[12:13], s[14:15], 12
	v_mov_b32_e32 v5, s13
	v_add_co_u32_e32 v2, vcc, s12, v2
	v_addc_co_u32_e32 v11, vcc, v3, v5, vcc
	s_mov_b32 s12, 0
	v_mov_b32_e32 v3, 33
	v_mov_b32_e32 v5, v4
	;; [unrolled: 1-line block ×3, first 2 shown]
	v_readfirstlane_b32 s16, v2
	v_readfirstlane_b32 s17, v11
	v_add_co_u32_e32 v9, vcc, v2, v30
	s_mov_b32 s13, s12
	s_mov_b32 s14, s12
	;; [unrolled: 1-line block ×3, first 2 shown]
	s_nop 0
	global_store_dwordx4 v30, v[3:6], s[16:17]
	v_mov_b32_e32 v2, s12
	v_addc_co_u32_e32 v10, vcc, 0, v11, vcc
	v_mov_b32_e32 v3, s13
	v_mov_b32_e32 v4, s14
	;; [unrolled: 1-line block ×3, first 2 shown]
	global_store_dwordx4 v30, v[2:5], s[16:17] offset:16
	global_store_dwordx4 v30, v[2:5], s[16:17] offset:32
	;; [unrolled: 1-line block ×3, first 2 shown]
	s_and_saveexec_b64 s[12:13], s[0:1]
	s_cbranch_execz .LBB2_237
; %bb.230:
	v_mov_b32_e32 v6, 0
	global_load_dwordx2 v[13:14], v6, s[10:11] offset:32 glc
	global_load_dwordx2 v[2:3], v6, s[10:11] offset:40
	v_mov_b32_e32 v11, s2
	v_mov_b32_e32 v12, s3
	s_waitcnt vmcnt(0)
	v_readfirstlane_b32 s14, v2
	v_readfirstlane_b32 s15, v3
	s_and_b64 s[14:15], s[14:15], s[2:3]
	s_mul_i32 s15, s15, 24
	s_mul_hi_u32 s16, s14, 24
	s_mul_i32 s14, s14, 24
	s_add_i32 s15, s16, s15
	v_mov_b32_e32 v2, s15
	v_add_co_u32_e32 v4, vcc, s14, v0
	v_addc_co_u32_e32 v5, vcc, v1, v2, vcc
	global_store_dwordx2 v[4:5], v[13:14], off
	s_waitcnt vmcnt(0)
	global_atomic_cmpswap_x2 v[2:3], v6, v[11:14], s[10:11] offset:32 glc
	s_waitcnt vmcnt(0)
	v_cmp_ne_u64_e32 vcc, v[2:3], v[13:14]
	s_and_saveexec_b64 s[14:15], vcc
	s_cbranch_execz .LBB2_233
; %bb.231:
	s_mov_b64 s[16:17], 0
.LBB2_232:                              ; =>This Inner Loop Header: Depth=1
	s_sleep 1
	global_store_dwordx2 v[4:5], v[2:3], off
	v_mov_b32_e32 v0, s2
	v_mov_b32_e32 v1, s3
	s_waitcnt vmcnt(0)
	global_atomic_cmpswap_x2 v[0:1], v6, v[0:3], s[10:11] offset:32 glc
	s_waitcnt vmcnt(0)
	v_cmp_eq_u64_e32 vcc, v[0:1], v[2:3]
	v_mov_b32_e32 v3, v1
	s_or_b64 s[16:17], vcc, s[16:17]
	v_mov_b32_e32 v2, v0
	s_andn2_b64 exec, exec, s[16:17]
	s_cbranch_execnz .LBB2_232
.LBB2_233:
	s_or_b64 exec, exec, s[14:15]
	v_mov_b32_e32 v3, 0
	global_load_dwordx2 v[0:1], v3, s[10:11] offset:16
	s_mov_b64 s[14:15], exec
	v_mbcnt_lo_u32_b32 v2, s14, 0
	v_mbcnt_hi_u32_b32 v2, s15, v2
	v_cmp_eq_u32_e32 vcc, 0, v2
	s_and_saveexec_b64 s[16:17], vcc
	s_cbranch_execz .LBB2_235
; %bb.234:
	s_bcnt1_i32_b64 s14, s[14:15]
	v_mov_b32_e32 v2, s14
	s_waitcnt vmcnt(0)
	global_atomic_add_x2 v[0:1], v[2:3], off offset:8
.LBB2_235:
	s_or_b64 exec, exec, s[16:17]
	s_waitcnt vmcnt(0)
	global_load_dwordx2 v[2:3], v[0:1], off offset:16
	s_waitcnt vmcnt(0)
	v_cmp_eq_u64_e32 vcc, 0, v[2:3]
	s_cbranch_vccnz .LBB2_237
; %bb.236:
	global_load_dword v0, v[0:1], off offset:24
	v_mov_b32_e32 v1, 0
	s_waitcnt vmcnt(0)
	v_readfirstlane_b32 s14, v0
	s_and_b32 m0, s14, 0xffffff
	global_store_dwordx2 v[2:3], v[0:1], off
	s_sendmsg sendmsg(MSG_INTERRUPT)
.LBB2_237:
	s_or_b64 exec, exec, s[12:13]
	s_branch .LBB2_241
.LBB2_238:                              ;   in Loop: Header=BB2_241 Depth=1
	s_or_b64 exec, exec, s[12:13]
	v_readfirstlane_b32 s12, v0
	s_cmp_eq_u32 s12, 0
	s_cbranch_scc1 .LBB2_240
; %bb.239:                              ;   in Loop: Header=BB2_241 Depth=1
	s_sleep 1
	s_cbranch_execnz .LBB2_241
	s_branch .LBB2_243
.LBB2_240:
	s_branch .LBB2_243
.LBB2_241:                              ; =>This Inner Loop Header: Depth=1
	v_mov_b32_e32 v0, 1
	s_and_saveexec_b64 s[12:13], s[0:1]
	s_cbranch_execz .LBB2_238
; %bb.242:                              ;   in Loop: Header=BB2_241 Depth=1
	global_load_dword v0, v[7:8], off offset:20 glc
	s_waitcnt vmcnt(0)
	buffer_wbinvl1_vol
	v_and_b32_e32 v0, 1, v0
	s_branch .LBB2_238
.LBB2_243:
	global_load_dwordx2 v[0:1], v[9:10], off
	s_and_saveexec_b64 s[12:13], s[0:1]
	s_cbranch_execz .LBB2_246
; %bb.244:
	v_mov_b32_e32 v8, 0
	global_load_dwordx2 v[2:3], v8, s[10:11] offset:40
	global_load_dwordx2 v[11:12], v8, s[10:11] offset:24 glc
	global_load_dwordx2 v[4:5], v8, s[10:11]
	s_waitcnt vmcnt(2)
	v_readfirstlane_b32 s14, v2
	v_readfirstlane_b32 s15, v3
	s_add_u32 s16, s14, 1
	s_addc_u32 s17, s15, 0
	s_add_u32 s0, s16, s2
	s_addc_u32 s1, s17, s3
	s_cmp_eq_u64 s[0:1], 0
	s_cselect_b32 s1, s17, s1
	s_cselect_b32 s0, s16, s0
	s_and_b64 s[2:3], s[0:1], s[14:15]
	s_mul_i32 s3, s3, 24
	s_mul_hi_u32 s14, s2, 24
	s_mul_i32 s2, s2, 24
	s_add_i32 s3, s14, s3
	v_mov_b32_e32 v2, s3
	s_waitcnt vmcnt(0)
	v_add_co_u32_e32 v6, vcc, s2, v4
	v_addc_co_u32_e32 v7, vcc, v5, v2, vcc
	v_mov_b32_e32 v9, s0
	global_store_dwordx2 v[6:7], v[11:12], off
	v_mov_b32_e32 v10, s1
	s_waitcnt vmcnt(0)
	global_atomic_cmpswap_x2 v[4:5], v8, v[9:12], s[10:11] offset:24 glc
	s_mov_b64 s[2:3], 0
	s_waitcnt vmcnt(0)
	v_cmp_ne_u64_e32 vcc, v[4:5], v[11:12]
	s_and_b64 exec, exec, vcc
	s_cbranch_execz .LBB2_246
.LBB2_245:                              ; =>This Inner Loop Header: Depth=1
	s_sleep 1
	global_store_dwordx2 v[6:7], v[4:5], off
	v_mov_b32_e32 v2, s0
	v_mov_b32_e32 v3, s1
	s_waitcnt vmcnt(0)
	global_atomic_cmpswap_x2 v[2:3], v8, v[2:5], s[10:11] offset:24 glc
	s_waitcnt vmcnt(0)
	v_cmp_eq_u64_e32 vcc, v[2:3], v[4:5]
	v_mov_b32_e32 v5, v3
	s_or_b64 s[2:3], vcc, s[2:3]
	v_mov_b32_e32 v4, v2
	s_andn2_b64 exec, exec, s[2:3]
	s_cbranch_execnz .LBB2_245
.LBB2_246:
	s_or_b64 exec, exec, s[12:13]
	s_getpc_b64 s[2:3]
	s_add_u32 s2, s2, .str.1@rel32@lo+4
	s_addc_u32 s3, s3, .str.1@rel32@hi+12
	s_cmp_lg_u64 s[2:3], 0
	s_cbranch_scc0 .LBB2_332
; %bb.247:
	s_waitcnt vmcnt(0)
	v_and_b32_e32 v32, 2, v0
	v_mov_b32_e32 v26, 0
	v_and_b32_e32 v2, -3, v0
	v_mov_b32_e32 v3, v1
	s_mov_b64 s[12:13], 48
	v_mov_b32_e32 v8, 2
	v_mov_b32_e32 v9, 1
	s_branch .LBB2_249
.LBB2_248:                              ;   in Loop: Header=BB2_249 Depth=1
	s_or_b64 exec, exec, s[18:19]
	s_sub_u32 s12, s12, s14
	s_subb_u32 s13, s13, s15
	s_add_u32 s2, s2, s14
	s_addc_u32 s3, s3, s15
	s_cmp_lg_u64 s[12:13], 0
	s_cbranch_scc0 .LBB2_331
.LBB2_249:                              ; =>This Loop Header: Depth=1
                                        ;     Child Loop BB2_252 Depth 2
                                        ;     Child Loop BB2_260 Depth 2
                                        ;     Child Loop BB2_268 Depth 2
                                        ;     Child Loop BB2_276 Depth 2
                                        ;     Child Loop BB2_284 Depth 2
                                        ;     Child Loop BB2_292 Depth 2
                                        ;     Child Loop BB2_300 Depth 2
                                        ;     Child Loop BB2_308 Depth 2
                                        ;     Child Loop BB2_316 Depth 2
                                        ;     Child Loop BB2_325 Depth 2
                                        ;     Child Loop BB2_330 Depth 2
	v_cmp_lt_u64_e64 s[0:1], s[12:13], 56
	v_cmp_gt_u64_e64 s[16:17], s[12:13], 7
	s_and_b64 s[0:1], s[0:1], exec
	s_cselect_b32 s15, s13, 0
	s_cselect_b32 s14, s12, 56
	s_add_u32 s0, s2, 8
	s_addc_u32 s1, s3, 0
	s_and_b64 vcc, exec, s[16:17]
	s_cbranch_vccnz .LBB2_253
; %bb.250:                              ;   in Loop: Header=BB2_249 Depth=1
	s_cmp_eq_u64 s[12:13], 0
	s_cbranch_scc1 .LBB2_254
; %bb.251:                              ;   in Loop: Header=BB2_249 Depth=1
	v_mov_b32_e32 v4, 0
	s_lshl_b64 s[0:1], s[14:15], 3
	s_mov_b64 s[16:17], 0
	v_mov_b32_e32 v5, 0
	s_mov_b64 s[18:19], s[2:3]
.LBB2_252:                              ;   Parent Loop BB2_249 Depth=1
                                        ; =>  This Inner Loop Header: Depth=2
	global_load_ubyte v6, v26, s[18:19]
	s_waitcnt vmcnt(0)
	v_and_b32_e32 v25, 0xffff, v6
	v_lshlrev_b64 v[6:7], s16, v[25:26]
	s_add_u32 s16, s16, 8
	s_addc_u32 s17, s17, 0
	s_add_u32 s18, s18, 1
	s_addc_u32 s19, s19, 0
	v_or_b32_e32 v4, v6, v4
	s_cmp_lg_u32 s0, s16
	v_or_b32_e32 v5, v7, v5
	s_cbranch_scc1 .LBB2_252
	s_branch .LBB2_255
.LBB2_253:                              ;   in Loop: Header=BB2_249 Depth=1
	s_mov_b32 s20, 0
	s_branch .LBB2_256
.LBB2_254:                              ;   in Loop: Header=BB2_249 Depth=1
	v_mov_b32_e32 v4, 0
	v_mov_b32_e32 v5, 0
.LBB2_255:                              ;   in Loop: Header=BB2_249 Depth=1
	s_mov_b64 s[0:1], s[2:3]
	s_mov_b32 s20, 0
	s_cbranch_execnz .LBB2_257
.LBB2_256:                              ;   in Loop: Header=BB2_249 Depth=1
	global_load_dwordx2 v[4:5], v26, s[2:3]
	s_add_i32 s20, s14, -8
.LBB2_257:                              ;   in Loop: Header=BB2_249 Depth=1
	s_add_u32 s16, s0, 8
	s_addc_u32 s17, s1, 0
	s_cmp_gt_u32 s20, 7
	s_cbranch_scc1 .LBB2_261
; %bb.258:                              ;   in Loop: Header=BB2_249 Depth=1
	s_cmp_eq_u32 s20, 0
	s_cbranch_scc1 .LBB2_262
; %bb.259:                              ;   in Loop: Header=BB2_249 Depth=1
	v_mov_b32_e32 v10, 0
	s_mov_b64 s[16:17], 0
	v_mov_b32_e32 v11, 0
	s_mov_b64 s[18:19], 0
.LBB2_260:                              ;   Parent Loop BB2_249 Depth=1
                                        ; =>  This Inner Loop Header: Depth=2
	s_add_u32 s22, s0, s18
	s_addc_u32 s23, s1, s19
	global_load_ubyte v6, v26, s[22:23]
	s_add_u32 s18, s18, 1
	s_addc_u32 s19, s19, 0
	s_waitcnt vmcnt(0)
	v_and_b32_e32 v25, 0xffff, v6
	v_lshlrev_b64 v[6:7], s16, v[25:26]
	s_add_u32 s16, s16, 8
	s_addc_u32 s17, s17, 0
	v_or_b32_e32 v10, v6, v10
	s_cmp_lg_u32 s20, s18
	v_or_b32_e32 v11, v7, v11
	s_cbranch_scc1 .LBB2_260
	s_branch .LBB2_263
.LBB2_261:                              ;   in Loop: Header=BB2_249 Depth=1
                                        ; implicit-def: $vgpr10_vgpr11
	s_mov_b32 s21, 0
	s_branch .LBB2_264
.LBB2_262:                              ;   in Loop: Header=BB2_249 Depth=1
	v_mov_b32_e32 v10, 0
	v_mov_b32_e32 v11, 0
.LBB2_263:                              ;   in Loop: Header=BB2_249 Depth=1
	s_mov_b64 s[16:17], s[0:1]
	s_mov_b32 s21, 0
	s_cbranch_execnz .LBB2_265
.LBB2_264:                              ;   in Loop: Header=BB2_249 Depth=1
	global_load_dwordx2 v[10:11], v26, s[0:1]
	s_add_i32 s21, s20, -8
.LBB2_265:                              ;   in Loop: Header=BB2_249 Depth=1
	s_add_u32 s0, s16, 8
	s_addc_u32 s1, s17, 0
	s_cmp_gt_u32 s21, 7
	s_cbranch_scc1 .LBB2_269
; %bb.266:                              ;   in Loop: Header=BB2_249 Depth=1
	s_cmp_eq_u32 s21, 0
	s_cbranch_scc1 .LBB2_270
; %bb.267:                              ;   in Loop: Header=BB2_249 Depth=1
	v_mov_b32_e32 v12, 0
	s_mov_b64 s[0:1], 0
	v_mov_b32_e32 v13, 0
	s_mov_b64 s[18:19], 0
.LBB2_268:                              ;   Parent Loop BB2_249 Depth=1
                                        ; =>  This Inner Loop Header: Depth=2
	s_add_u32 s22, s16, s18
	s_addc_u32 s23, s17, s19
	global_load_ubyte v6, v26, s[22:23]
	s_add_u32 s18, s18, 1
	s_addc_u32 s19, s19, 0
	s_waitcnt vmcnt(0)
	v_and_b32_e32 v25, 0xffff, v6
	v_lshlrev_b64 v[6:7], s0, v[25:26]
	s_add_u32 s0, s0, 8
	s_addc_u32 s1, s1, 0
	v_or_b32_e32 v12, v6, v12
	s_cmp_lg_u32 s21, s18
	v_or_b32_e32 v13, v7, v13
	s_cbranch_scc1 .LBB2_268
	s_branch .LBB2_271
.LBB2_269:                              ;   in Loop: Header=BB2_249 Depth=1
	s_mov_b32 s20, 0
	s_branch .LBB2_272
.LBB2_270:                              ;   in Loop: Header=BB2_249 Depth=1
	v_mov_b32_e32 v12, 0
	v_mov_b32_e32 v13, 0
.LBB2_271:                              ;   in Loop: Header=BB2_249 Depth=1
	s_mov_b64 s[0:1], s[16:17]
	s_mov_b32 s20, 0
	s_cbranch_execnz .LBB2_273
.LBB2_272:                              ;   in Loop: Header=BB2_249 Depth=1
	global_load_dwordx2 v[12:13], v26, s[16:17]
	s_add_i32 s20, s21, -8
.LBB2_273:                              ;   in Loop: Header=BB2_249 Depth=1
	s_add_u32 s16, s0, 8
	s_addc_u32 s17, s1, 0
	s_cmp_gt_u32 s20, 7
	s_cbranch_scc1 .LBB2_277
; %bb.274:                              ;   in Loop: Header=BB2_249 Depth=1
	s_cmp_eq_u32 s20, 0
	s_cbranch_scc1 .LBB2_278
; %bb.275:                              ;   in Loop: Header=BB2_249 Depth=1
	v_mov_b32_e32 v14, 0
	s_mov_b64 s[16:17], 0
	v_mov_b32_e32 v15, 0
	s_mov_b64 s[18:19], 0
.LBB2_276:                              ;   Parent Loop BB2_249 Depth=1
                                        ; =>  This Inner Loop Header: Depth=2
	s_add_u32 s22, s0, s18
	s_addc_u32 s23, s1, s19
	global_load_ubyte v6, v26, s[22:23]
	s_add_u32 s18, s18, 1
	s_addc_u32 s19, s19, 0
	s_waitcnt vmcnt(0)
	v_and_b32_e32 v25, 0xffff, v6
	v_lshlrev_b64 v[6:7], s16, v[25:26]
	s_add_u32 s16, s16, 8
	s_addc_u32 s17, s17, 0
	v_or_b32_e32 v14, v6, v14
	s_cmp_lg_u32 s20, s18
	v_or_b32_e32 v15, v7, v15
	s_cbranch_scc1 .LBB2_276
	s_branch .LBB2_279
.LBB2_277:                              ;   in Loop: Header=BB2_249 Depth=1
                                        ; implicit-def: $vgpr14_vgpr15
	s_mov_b32 s21, 0
	s_branch .LBB2_280
.LBB2_278:                              ;   in Loop: Header=BB2_249 Depth=1
	v_mov_b32_e32 v14, 0
	v_mov_b32_e32 v15, 0
.LBB2_279:                              ;   in Loop: Header=BB2_249 Depth=1
	s_mov_b64 s[16:17], s[0:1]
	s_mov_b32 s21, 0
	s_cbranch_execnz .LBB2_281
.LBB2_280:                              ;   in Loop: Header=BB2_249 Depth=1
	global_load_dwordx2 v[14:15], v26, s[0:1]
	s_add_i32 s21, s20, -8
.LBB2_281:                              ;   in Loop: Header=BB2_249 Depth=1
	s_add_u32 s0, s16, 8
	s_addc_u32 s1, s17, 0
	s_cmp_gt_u32 s21, 7
	s_cbranch_scc1 .LBB2_285
; %bb.282:                              ;   in Loop: Header=BB2_249 Depth=1
	s_cmp_eq_u32 s21, 0
	s_cbranch_scc1 .LBB2_286
; %bb.283:                              ;   in Loop: Header=BB2_249 Depth=1
	v_mov_b32_e32 v16, 0
	s_mov_b64 s[0:1], 0
	v_mov_b32_e32 v17, 0
	s_mov_b64 s[18:19], 0
.LBB2_284:                              ;   Parent Loop BB2_249 Depth=1
                                        ; =>  This Inner Loop Header: Depth=2
	s_add_u32 s22, s16, s18
	s_addc_u32 s23, s17, s19
	global_load_ubyte v6, v26, s[22:23]
	s_add_u32 s18, s18, 1
	s_addc_u32 s19, s19, 0
	s_waitcnt vmcnt(0)
	v_and_b32_e32 v25, 0xffff, v6
	v_lshlrev_b64 v[6:7], s0, v[25:26]
	s_add_u32 s0, s0, 8
	s_addc_u32 s1, s1, 0
	v_or_b32_e32 v16, v6, v16
	s_cmp_lg_u32 s21, s18
	v_or_b32_e32 v17, v7, v17
	s_cbranch_scc1 .LBB2_284
	s_branch .LBB2_287
.LBB2_285:                              ;   in Loop: Header=BB2_249 Depth=1
	s_mov_b32 s20, 0
	s_branch .LBB2_288
.LBB2_286:                              ;   in Loop: Header=BB2_249 Depth=1
	v_mov_b32_e32 v16, 0
	v_mov_b32_e32 v17, 0
.LBB2_287:                              ;   in Loop: Header=BB2_249 Depth=1
	s_mov_b64 s[0:1], s[16:17]
	s_mov_b32 s20, 0
	s_cbranch_execnz .LBB2_289
.LBB2_288:                              ;   in Loop: Header=BB2_249 Depth=1
	global_load_dwordx2 v[16:17], v26, s[16:17]
	s_add_i32 s20, s21, -8
.LBB2_289:                              ;   in Loop: Header=BB2_249 Depth=1
	s_add_u32 s16, s0, 8
	s_addc_u32 s17, s1, 0
	s_cmp_gt_u32 s20, 7
	s_cbranch_scc1 .LBB2_293
; %bb.290:                              ;   in Loop: Header=BB2_249 Depth=1
	s_cmp_eq_u32 s20, 0
	s_cbranch_scc1 .LBB2_294
; %bb.291:                              ;   in Loop: Header=BB2_249 Depth=1
	v_mov_b32_e32 v18, 0
	s_mov_b64 s[16:17], 0
	v_mov_b32_e32 v19, 0
	s_mov_b64 s[18:19], 0
.LBB2_292:                              ;   Parent Loop BB2_249 Depth=1
                                        ; =>  This Inner Loop Header: Depth=2
	s_add_u32 s22, s0, s18
	s_addc_u32 s23, s1, s19
	global_load_ubyte v6, v26, s[22:23]
	s_add_u32 s18, s18, 1
	s_addc_u32 s19, s19, 0
	s_waitcnt vmcnt(0)
	v_and_b32_e32 v25, 0xffff, v6
	v_lshlrev_b64 v[6:7], s16, v[25:26]
	s_add_u32 s16, s16, 8
	s_addc_u32 s17, s17, 0
	v_or_b32_e32 v18, v6, v18
	s_cmp_lg_u32 s20, s18
	v_or_b32_e32 v19, v7, v19
	s_cbranch_scc1 .LBB2_292
	s_branch .LBB2_295
.LBB2_293:                              ;   in Loop: Header=BB2_249 Depth=1
                                        ; implicit-def: $vgpr18_vgpr19
	s_mov_b32 s21, 0
	s_branch .LBB2_296
.LBB2_294:                              ;   in Loop: Header=BB2_249 Depth=1
	v_mov_b32_e32 v18, 0
	v_mov_b32_e32 v19, 0
.LBB2_295:                              ;   in Loop: Header=BB2_249 Depth=1
	s_mov_b64 s[16:17], s[0:1]
	s_mov_b32 s21, 0
	s_cbranch_execnz .LBB2_297
.LBB2_296:                              ;   in Loop: Header=BB2_249 Depth=1
	global_load_dwordx2 v[18:19], v26, s[0:1]
	s_add_i32 s21, s20, -8
.LBB2_297:                              ;   in Loop: Header=BB2_249 Depth=1
	s_cmp_gt_u32 s21, 7
	s_cbranch_scc1 .LBB2_301
; %bb.298:                              ;   in Loop: Header=BB2_249 Depth=1
	s_cmp_eq_u32 s21, 0
	s_cbranch_scc1 .LBB2_302
; %bb.299:                              ;   in Loop: Header=BB2_249 Depth=1
	v_mov_b32_e32 v20, 0
	s_mov_b64 s[0:1], 0
	v_mov_b32_e32 v21, 0
	s_mov_b64 s[18:19], s[16:17]
.LBB2_300:                              ;   Parent Loop BB2_249 Depth=1
                                        ; =>  This Inner Loop Header: Depth=2
	global_load_ubyte v6, v26, s[18:19]
	s_add_i32 s21, s21, -1
	s_waitcnt vmcnt(0)
	v_and_b32_e32 v25, 0xffff, v6
	v_lshlrev_b64 v[6:7], s0, v[25:26]
	s_add_u32 s0, s0, 8
	s_addc_u32 s1, s1, 0
	s_add_u32 s18, s18, 1
	s_addc_u32 s19, s19, 0
	v_or_b32_e32 v20, v6, v20
	s_cmp_lg_u32 s21, 0
	v_or_b32_e32 v21, v7, v21
	s_cbranch_scc1 .LBB2_300
	s_branch .LBB2_303
.LBB2_301:                              ;   in Loop: Header=BB2_249 Depth=1
	s_branch .LBB2_304
.LBB2_302:                              ;   in Loop: Header=BB2_249 Depth=1
	v_mov_b32_e32 v20, 0
	v_mov_b32_e32 v21, 0
.LBB2_303:                              ;   in Loop: Header=BB2_249 Depth=1
	s_cbranch_execnz .LBB2_305
.LBB2_304:                              ;   in Loop: Header=BB2_249 Depth=1
	global_load_dwordx2 v[20:21], v26, s[16:17]
.LBB2_305:                              ;   in Loop: Header=BB2_249 Depth=1
	v_readfirstlane_b32 s0, v31
	v_mov_b32_e32 v6, 0
	v_mov_b32_e32 v7, 0
	v_cmp_eq_u32_e64 s[0:1], s0, v31
	s_and_saveexec_b64 s[16:17], s[0:1]
	s_cbranch_execz .LBB2_311
; %bb.306:                              ;   in Loop: Header=BB2_249 Depth=1
	global_load_dwordx2 v[24:25], v26, s[10:11] offset:24 glc
	s_waitcnt vmcnt(0)
	buffer_wbinvl1_vol
	global_load_dwordx2 v[6:7], v26, s[10:11] offset:40
	global_load_dwordx2 v[22:23], v26, s[10:11]
	s_waitcnt vmcnt(1)
	v_and_b32_e32 v6, v6, v24
	v_and_b32_e32 v7, v7, v25
	v_mul_lo_u32 v7, v7, 24
	v_mul_hi_u32 v27, v6, 24
	v_mul_lo_u32 v6, v6, 24
	v_add_u32_e32 v7, v27, v7
	s_waitcnt vmcnt(0)
	v_add_co_u32_e32 v6, vcc, v22, v6
	v_addc_co_u32_e32 v7, vcc, v23, v7, vcc
	global_load_dwordx2 v[22:23], v[6:7], off glc
	s_waitcnt vmcnt(0)
	global_atomic_cmpswap_x2 v[6:7], v26, v[22:25], s[10:11] offset:24 glc
	s_waitcnt vmcnt(0)
	buffer_wbinvl1_vol
	v_cmp_ne_u64_e32 vcc, v[6:7], v[24:25]
	s_and_saveexec_b64 s[18:19], vcc
	s_cbranch_execz .LBB2_310
; %bb.307:                              ;   in Loop: Header=BB2_249 Depth=1
	s_mov_b64 s[20:21], 0
.LBB2_308:                              ;   Parent Loop BB2_249 Depth=1
                                        ; =>  This Inner Loop Header: Depth=2
	s_sleep 1
	global_load_dwordx2 v[22:23], v26, s[10:11] offset:40
	global_load_dwordx2 v[27:28], v26, s[10:11]
	v_mov_b32_e32 v25, v7
	v_mov_b32_e32 v24, v6
	s_waitcnt vmcnt(1)
	v_and_b32_e32 v6, v22, v24
	s_waitcnt vmcnt(0)
	v_mad_u64_u32 v[6:7], s[22:23], v6, 24, v[27:28]
	v_and_b32_e32 v22, v23, v25
	v_mad_u64_u32 v[22:23], s[22:23], v22, 24, v[7:8]
	v_mov_b32_e32 v7, v22
	global_load_dwordx2 v[22:23], v[6:7], off glc
	s_waitcnt vmcnt(0)
	global_atomic_cmpswap_x2 v[6:7], v26, v[22:25], s[10:11] offset:24 glc
	s_waitcnt vmcnt(0)
	buffer_wbinvl1_vol
	v_cmp_eq_u64_e32 vcc, v[6:7], v[24:25]
	s_or_b64 s[20:21], vcc, s[20:21]
	s_andn2_b64 exec, exec, s[20:21]
	s_cbranch_execnz .LBB2_308
; %bb.309:                              ;   in Loop: Header=BB2_249 Depth=1
	s_or_b64 exec, exec, s[20:21]
.LBB2_310:                              ;   in Loop: Header=BB2_249 Depth=1
	s_or_b64 exec, exec, s[18:19]
.LBB2_311:                              ;   in Loop: Header=BB2_249 Depth=1
	s_or_b64 exec, exec, s[16:17]
	global_load_dwordx2 v[27:28], v26, s[10:11] offset:40
	global_load_dwordx4 v[22:25], v26, s[10:11]
	v_readfirstlane_b32 s17, v7
	v_readfirstlane_b32 s16, v6
	s_mov_b64 s[18:19], exec
	s_waitcnt vmcnt(1)
	v_readfirstlane_b32 s20, v27
	v_readfirstlane_b32 s21, v28
	s_and_b64 s[20:21], s[20:21], s[16:17]
	s_mul_i32 s22, s21, 24
	s_mul_hi_u32 s23, s20, 24
	s_mul_i32 s24, s20, 24
	s_add_i32 s22, s23, s22
	v_mov_b32_e32 v6, s22
	s_waitcnt vmcnt(0)
	v_add_co_u32_e32 v27, vcc, s24, v22
	v_addc_co_u32_e32 v28, vcc, v23, v6, vcc
	s_and_saveexec_b64 s[22:23], s[0:1]
	s_cbranch_execz .LBB2_313
; %bb.312:                              ;   in Loop: Header=BB2_249 Depth=1
	v_mov_b32_e32 v6, s18
	v_mov_b32_e32 v7, s19
	global_store_dwordx4 v[27:28], v[6:9], off offset:8
.LBB2_313:                              ;   in Loop: Header=BB2_249 Depth=1
	s_or_b64 exec, exec, s[22:23]
	s_lshl_b64 s[18:19], s[20:21], 12
	v_mov_b32_e32 v6, s19
	v_add_co_u32_e32 v24, vcc, s18, v24
	v_addc_co_u32_e32 v33, vcc, v25, v6, vcc
	v_cmp_lt_u64_e64 vcc, s[12:13], 57
	s_lshl_b32 s18, s14, 2
	v_cndmask_b32_e32 v6, 0, v32, vcc
	s_add_i32 s18, s18, 28
	v_and_b32_e32 v2, 0xffffff1f, v2
	s_and_b32 s18, s18, 0x1e0
	v_or_b32_e32 v2, v2, v6
	v_or_b32_e32 v2, s18, v2
	v_readfirstlane_b32 s18, v24
	v_readfirstlane_b32 s19, v33
	s_nop 4
	global_store_dwordx4 v30, v[2:5], s[18:19]
	global_store_dwordx4 v30, v[10:13], s[18:19] offset:16
	global_store_dwordx4 v30, v[14:17], s[18:19] offset:32
	;; [unrolled: 1-line block ×3, first 2 shown]
	s_and_saveexec_b64 s[18:19], s[0:1]
	s_cbranch_execz .LBB2_321
; %bb.314:                              ;   in Loop: Header=BB2_249 Depth=1
	global_load_dwordx2 v[12:13], v26, s[10:11] offset:32 glc
	global_load_dwordx2 v[2:3], v26, s[10:11] offset:40
	v_mov_b32_e32 v10, s16
	v_mov_b32_e32 v11, s17
	s_waitcnt vmcnt(0)
	v_readfirstlane_b32 s20, v2
	v_readfirstlane_b32 s21, v3
	s_and_b64 s[20:21], s[20:21], s[16:17]
	s_mul_i32 s21, s21, 24
	s_mul_hi_u32 s22, s20, 24
	s_mul_i32 s20, s20, 24
	s_add_i32 s21, s22, s21
	v_mov_b32_e32 v2, s21
	v_add_co_u32_e32 v6, vcc, s20, v22
	v_addc_co_u32_e32 v7, vcc, v23, v2, vcc
	global_store_dwordx2 v[6:7], v[12:13], off
	s_waitcnt vmcnt(0)
	global_atomic_cmpswap_x2 v[4:5], v26, v[10:13], s[10:11] offset:32 glc
	s_waitcnt vmcnt(0)
	v_cmp_ne_u64_e32 vcc, v[4:5], v[12:13]
	s_and_saveexec_b64 s[20:21], vcc
	s_cbranch_execz .LBB2_317
; %bb.315:                              ;   in Loop: Header=BB2_249 Depth=1
	s_mov_b64 s[22:23], 0
.LBB2_316:                              ;   Parent Loop BB2_249 Depth=1
                                        ; =>  This Inner Loop Header: Depth=2
	s_sleep 1
	global_store_dwordx2 v[6:7], v[4:5], off
	v_mov_b32_e32 v2, s16
	v_mov_b32_e32 v3, s17
	s_waitcnt vmcnt(0)
	global_atomic_cmpswap_x2 v[2:3], v26, v[2:5], s[10:11] offset:32 glc
	s_waitcnt vmcnt(0)
	v_cmp_eq_u64_e32 vcc, v[2:3], v[4:5]
	v_mov_b32_e32 v5, v3
	s_or_b64 s[22:23], vcc, s[22:23]
	v_mov_b32_e32 v4, v2
	s_andn2_b64 exec, exec, s[22:23]
	s_cbranch_execnz .LBB2_316
.LBB2_317:                              ;   in Loop: Header=BB2_249 Depth=1
	s_or_b64 exec, exec, s[20:21]
	global_load_dwordx2 v[2:3], v26, s[10:11] offset:16
	s_mov_b64 s[22:23], exec
	v_mbcnt_lo_u32_b32 v4, s22, 0
	v_mbcnt_hi_u32_b32 v4, s23, v4
	v_cmp_eq_u32_e32 vcc, 0, v4
	s_and_saveexec_b64 s[20:21], vcc
	s_cbranch_execz .LBB2_319
; %bb.318:                              ;   in Loop: Header=BB2_249 Depth=1
	s_bcnt1_i32_b64 s22, s[22:23]
	v_mov_b32_e32 v25, s22
	s_waitcnt vmcnt(0)
	global_atomic_add_x2 v[2:3], v[25:26], off offset:8
.LBB2_319:                              ;   in Loop: Header=BB2_249 Depth=1
	s_or_b64 exec, exec, s[20:21]
	s_waitcnt vmcnt(0)
	global_load_dwordx2 v[4:5], v[2:3], off offset:16
	s_waitcnt vmcnt(0)
	v_cmp_eq_u64_e32 vcc, 0, v[4:5]
	s_cbranch_vccnz .LBB2_321
; %bb.320:                              ;   in Loop: Header=BB2_249 Depth=1
	global_load_dword v25, v[2:3], off offset:24
	s_waitcnt vmcnt(0)
	v_readfirstlane_b32 s20, v25
	s_and_b32 m0, s20, 0xffffff
	global_store_dwordx2 v[4:5], v[25:26], off
	s_sendmsg sendmsg(MSG_INTERRUPT)
.LBB2_321:                              ;   in Loop: Header=BB2_249 Depth=1
	s_or_b64 exec, exec, s[18:19]
	v_add_co_u32_e32 v2, vcc, v24, v30
	v_addc_co_u32_e32 v3, vcc, 0, v33, vcc
	s_branch .LBB2_325
.LBB2_322:                              ;   in Loop: Header=BB2_325 Depth=2
	s_or_b64 exec, exec, s[18:19]
	v_readfirstlane_b32 s18, v4
	s_cmp_eq_u32 s18, 0
	s_cbranch_scc1 .LBB2_324
; %bb.323:                              ;   in Loop: Header=BB2_325 Depth=2
	s_sleep 1
	s_cbranch_execnz .LBB2_325
	s_branch .LBB2_327
.LBB2_324:                              ;   in Loop: Header=BB2_249 Depth=1
	s_branch .LBB2_327
.LBB2_325:                              ;   Parent Loop BB2_249 Depth=1
                                        ; =>  This Inner Loop Header: Depth=2
	v_mov_b32_e32 v4, 1
	s_and_saveexec_b64 s[18:19], s[0:1]
	s_cbranch_execz .LBB2_322
; %bb.326:                              ;   in Loop: Header=BB2_325 Depth=2
	global_load_dword v4, v[27:28], off offset:20 glc
	s_waitcnt vmcnt(0)
	buffer_wbinvl1_vol
	v_and_b32_e32 v4, 1, v4
	s_branch .LBB2_322
.LBB2_327:                              ;   in Loop: Header=BB2_249 Depth=1
	global_load_dwordx2 v[2:3], v[2:3], off
	s_and_saveexec_b64 s[18:19], s[0:1]
	s_cbranch_execz .LBB2_248
; %bb.328:                              ;   in Loop: Header=BB2_249 Depth=1
	global_load_dwordx2 v[4:5], v26, s[10:11] offset:40
	global_load_dwordx2 v[14:15], v26, s[10:11] offset:24 glc
	global_load_dwordx2 v[6:7], v26, s[10:11]
	s_waitcnt vmcnt(2)
	v_readfirstlane_b32 s20, v4
	v_readfirstlane_b32 s21, v5
	s_add_u32 s22, s20, 1
	s_addc_u32 s23, s21, 0
	s_add_u32 s0, s22, s16
	s_addc_u32 s1, s23, s17
	s_cmp_eq_u64 s[0:1], 0
	s_cselect_b32 s1, s23, s1
	s_cselect_b32 s0, s22, s0
	s_and_b64 s[16:17], s[0:1], s[20:21]
	s_mul_i32 s17, s17, 24
	s_mul_hi_u32 s20, s16, 24
	s_mul_i32 s16, s16, 24
	s_add_i32 s17, s20, s17
	v_mov_b32_e32 v4, s17
	s_waitcnt vmcnt(0)
	v_add_co_u32_e32 v10, vcc, s16, v6
	v_addc_co_u32_e32 v11, vcc, v7, v4, vcc
	v_mov_b32_e32 v12, s0
	global_store_dwordx2 v[10:11], v[14:15], off
	v_mov_b32_e32 v13, s1
	s_waitcnt vmcnt(0)
	global_atomic_cmpswap_x2 v[6:7], v26, v[12:15], s[10:11] offset:24 glc
	s_waitcnt vmcnt(0)
	v_cmp_ne_u64_e32 vcc, v[6:7], v[14:15]
	s_and_b64 exec, exec, vcc
	s_cbranch_execz .LBB2_248
; %bb.329:                              ;   in Loop: Header=BB2_249 Depth=1
	s_mov_b64 s[16:17], 0
.LBB2_330:                              ;   Parent Loop BB2_249 Depth=1
                                        ; =>  This Inner Loop Header: Depth=2
	s_sleep 1
	global_store_dwordx2 v[10:11], v[6:7], off
	v_mov_b32_e32 v4, s0
	v_mov_b32_e32 v5, s1
	s_waitcnt vmcnt(0)
	global_atomic_cmpswap_x2 v[4:5], v26, v[4:7], s[10:11] offset:24 glc
	s_waitcnt vmcnt(0)
	v_cmp_eq_u64_e32 vcc, v[4:5], v[6:7]
	v_mov_b32_e32 v7, v5
	s_or_b64 s[16:17], vcc, s[16:17]
	v_mov_b32_e32 v6, v4
	s_andn2_b64 exec, exec, s[16:17]
	s_cbranch_execnz .LBB2_330
	s_branch .LBB2_248
.LBB2_331:
	s_branch .LBB2_359
.LBB2_332:
                                        ; implicit-def: $vgpr2_vgpr3
	s_cbranch_execz .LBB2_359
; %bb.333:
	v_readfirstlane_b32 s0, v31
	v_mov_b32_e32 v8, 0
	v_mov_b32_e32 v9, 0
	v_cmp_eq_u32_e64 s[0:1], s0, v31
	s_and_saveexec_b64 s[2:3], s[0:1]
	s_cbranch_execz .LBB2_339
; %bb.334:
	s_waitcnt vmcnt(0)
	v_mov_b32_e32 v2, 0
	global_load_dwordx2 v[5:6], v2, s[10:11] offset:24 glc
	s_waitcnt vmcnt(0)
	buffer_wbinvl1_vol
	global_load_dwordx2 v[3:4], v2, s[10:11] offset:40
	global_load_dwordx2 v[7:8], v2, s[10:11]
	s_waitcnt vmcnt(1)
	v_and_b32_e32 v3, v3, v5
	v_and_b32_e32 v4, v4, v6
	v_mul_lo_u32 v4, v4, 24
	v_mul_hi_u32 v9, v3, 24
	v_mul_lo_u32 v3, v3, 24
	v_add_u32_e32 v4, v9, v4
	s_waitcnt vmcnt(0)
	v_add_co_u32_e32 v3, vcc, v7, v3
	v_addc_co_u32_e32 v4, vcc, v8, v4, vcc
	global_load_dwordx2 v[3:4], v[3:4], off glc
	s_waitcnt vmcnt(0)
	global_atomic_cmpswap_x2 v[8:9], v2, v[3:6], s[10:11] offset:24 glc
	s_waitcnt vmcnt(0)
	buffer_wbinvl1_vol
	v_cmp_ne_u64_e32 vcc, v[8:9], v[5:6]
	s_and_saveexec_b64 s[12:13], vcc
	s_cbranch_execz .LBB2_338
; %bb.335:
	s_mov_b64 s[14:15], 0
.LBB2_336:                              ; =>This Inner Loop Header: Depth=1
	s_sleep 1
	global_load_dwordx2 v[3:4], v2, s[10:11] offset:40
	global_load_dwordx2 v[10:11], v2, s[10:11]
	v_mov_b32_e32 v5, v8
	v_mov_b32_e32 v6, v9
	s_waitcnt vmcnt(1)
	v_and_b32_e32 v3, v3, v5
	s_waitcnt vmcnt(0)
	v_mad_u64_u32 v[7:8], s[16:17], v3, 24, v[10:11]
	v_and_b32_e32 v4, v4, v6
	v_mov_b32_e32 v3, v8
	v_mad_u64_u32 v[3:4], s[16:17], v4, 24, v[3:4]
	v_mov_b32_e32 v8, v3
	global_load_dwordx2 v[3:4], v[7:8], off glc
	s_waitcnt vmcnt(0)
	global_atomic_cmpswap_x2 v[8:9], v2, v[3:6], s[10:11] offset:24 glc
	s_waitcnt vmcnt(0)
	buffer_wbinvl1_vol
	v_cmp_eq_u64_e32 vcc, v[8:9], v[5:6]
	s_or_b64 s[14:15], vcc, s[14:15]
	s_andn2_b64 exec, exec, s[14:15]
	s_cbranch_execnz .LBB2_336
; %bb.337:
	s_or_b64 exec, exec, s[14:15]
.LBB2_338:
	s_or_b64 exec, exec, s[12:13]
.LBB2_339:
	s_or_b64 exec, exec, s[2:3]
	s_waitcnt vmcnt(0)
	v_mov_b32_e32 v2, 0
	global_load_dwordx2 v[10:11], v2, s[10:11] offset:40
	global_load_dwordx4 v[4:7], v2, s[10:11]
	v_readfirstlane_b32 s3, v9
	v_readfirstlane_b32 s2, v8
	s_mov_b64 s[12:13], exec
	s_waitcnt vmcnt(1)
	v_readfirstlane_b32 s14, v10
	v_readfirstlane_b32 s15, v11
	s_and_b64 s[14:15], s[14:15], s[2:3]
	s_mul_i32 s16, s15, 24
	s_mul_hi_u32 s17, s14, 24
	s_mul_i32 s18, s14, 24
	s_add_i32 s16, s17, s16
	v_mov_b32_e32 v3, s16
	s_waitcnt vmcnt(0)
	v_add_co_u32_e32 v8, vcc, s18, v4
	v_addc_co_u32_e32 v9, vcc, v5, v3, vcc
	s_and_saveexec_b64 s[16:17], s[0:1]
	s_cbranch_execz .LBB2_341
; %bb.340:
	v_mov_b32_e32 v10, s12
	v_mov_b32_e32 v11, s13
	;; [unrolled: 1-line block ×4, first 2 shown]
	global_store_dwordx4 v[8:9], v[10:13], off offset:8
.LBB2_341:
	s_or_b64 exec, exec, s[16:17]
	s_lshl_b64 s[12:13], s[14:15], 12
	v_mov_b32_e32 v3, s13
	v_add_co_u32_e32 v10, vcc, s12, v6
	v_addc_co_u32_e32 v11, vcc, v7, v3, vcc
	s_movk_i32 s12, 0xff1f
	v_and_or_b32 v0, v0, s12, 32
	s_mov_b32 s12, 0
	v_mov_b32_e32 v3, v2
	v_readfirstlane_b32 s16, v10
	v_readfirstlane_b32 s17, v11
	v_add_co_u32_e32 v6, vcc, v10, v30
	s_mov_b32 s13, s12
	s_mov_b32 s14, s12
	;; [unrolled: 1-line block ×3, first 2 shown]
	s_nop 0
	global_store_dwordx4 v30, v[0:3], s[16:17]
	v_addc_co_u32_e32 v7, vcc, 0, v11, vcc
	v_mov_b32_e32 v0, s12
	v_mov_b32_e32 v1, s13
	;; [unrolled: 1-line block ×4, first 2 shown]
	global_store_dwordx4 v30, v[0:3], s[16:17] offset:16
	global_store_dwordx4 v30, v[0:3], s[16:17] offset:32
	;; [unrolled: 1-line block ×3, first 2 shown]
	s_and_saveexec_b64 s[12:13], s[0:1]
	s_cbranch_execz .LBB2_349
; %bb.342:
	v_mov_b32_e32 v10, 0
	global_load_dwordx2 v[13:14], v10, s[10:11] offset:32 glc
	global_load_dwordx2 v[0:1], v10, s[10:11] offset:40
	v_mov_b32_e32 v11, s2
	v_mov_b32_e32 v12, s3
	s_waitcnt vmcnt(0)
	v_readfirstlane_b32 s14, v0
	v_readfirstlane_b32 s15, v1
	s_and_b64 s[14:15], s[14:15], s[2:3]
	s_mul_i32 s15, s15, 24
	s_mul_hi_u32 s16, s14, 24
	s_mul_i32 s14, s14, 24
	s_add_i32 s15, s16, s15
	v_mov_b32_e32 v0, s15
	v_add_co_u32_e32 v4, vcc, s14, v4
	v_addc_co_u32_e32 v5, vcc, v5, v0, vcc
	global_store_dwordx2 v[4:5], v[13:14], off
	s_waitcnt vmcnt(0)
	global_atomic_cmpswap_x2 v[2:3], v10, v[11:14], s[10:11] offset:32 glc
	s_waitcnt vmcnt(0)
	v_cmp_ne_u64_e32 vcc, v[2:3], v[13:14]
	s_and_saveexec_b64 s[14:15], vcc
	s_cbranch_execz .LBB2_345
; %bb.343:
	s_mov_b64 s[16:17], 0
.LBB2_344:                              ; =>This Inner Loop Header: Depth=1
	s_sleep 1
	global_store_dwordx2 v[4:5], v[2:3], off
	v_mov_b32_e32 v0, s2
	v_mov_b32_e32 v1, s3
	s_waitcnt vmcnt(0)
	global_atomic_cmpswap_x2 v[0:1], v10, v[0:3], s[10:11] offset:32 glc
	s_waitcnt vmcnt(0)
	v_cmp_eq_u64_e32 vcc, v[0:1], v[2:3]
	v_mov_b32_e32 v3, v1
	s_or_b64 s[16:17], vcc, s[16:17]
	v_mov_b32_e32 v2, v0
	s_andn2_b64 exec, exec, s[16:17]
	s_cbranch_execnz .LBB2_344
.LBB2_345:
	s_or_b64 exec, exec, s[14:15]
	v_mov_b32_e32 v3, 0
	global_load_dwordx2 v[0:1], v3, s[10:11] offset:16
	s_mov_b64 s[14:15], exec
	v_mbcnt_lo_u32_b32 v2, s14, 0
	v_mbcnt_hi_u32_b32 v2, s15, v2
	v_cmp_eq_u32_e32 vcc, 0, v2
	s_and_saveexec_b64 s[16:17], vcc
	s_cbranch_execz .LBB2_347
; %bb.346:
	s_bcnt1_i32_b64 s14, s[14:15]
	v_mov_b32_e32 v2, s14
	s_waitcnt vmcnt(0)
	global_atomic_add_x2 v[0:1], v[2:3], off offset:8
.LBB2_347:
	s_or_b64 exec, exec, s[16:17]
	s_waitcnt vmcnt(0)
	global_load_dwordx2 v[2:3], v[0:1], off offset:16
	s_waitcnt vmcnt(0)
	v_cmp_eq_u64_e32 vcc, 0, v[2:3]
	s_cbranch_vccnz .LBB2_349
; %bb.348:
	global_load_dword v0, v[0:1], off offset:24
	v_mov_b32_e32 v1, 0
	s_waitcnt vmcnt(0)
	v_readfirstlane_b32 s14, v0
	s_and_b32 m0, s14, 0xffffff
	global_store_dwordx2 v[2:3], v[0:1], off
	s_sendmsg sendmsg(MSG_INTERRUPT)
.LBB2_349:
	s_or_b64 exec, exec, s[12:13]
	s_branch .LBB2_353
.LBB2_350:                              ;   in Loop: Header=BB2_353 Depth=1
	s_or_b64 exec, exec, s[12:13]
	v_readfirstlane_b32 s12, v0
	s_cmp_eq_u32 s12, 0
	s_cbranch_scc1 .LBB2_352
; %bb.351:                              ;   in Loop: Header=BB2_353 Depth=1
	s_sleep 1
	s_cbranch_execnz .LBB2_353
	s_branch .LBB2_355
.LBB2_352:
	s_branch .LBB2_355
.LBB2_353:                              ; =>This Inner Loop Header: Depth=1
	v_mov_b32_e32 v0, 1
	s_and_saveexec_b64 s[12:13], s[0:1]
	s_cbranch_execz .LBB2_350
; %bb.354:                              ;   in Loop: Header=BB2_353 Depth=1
	global_load_dword v0, v[8:9], off offset:20 glc
	s_waitcnt vmcnt(0)
	buffer_wbinvl1_vol
	v_and_b32_e32 v0, 1, v0
	s_branch .LBB2_350
.LBB2_355:
	global_load_dwordx2 v[2:3], v[6:7], off
	s_and_saveexec_b64 s[12:13], s[0:1]
	s_cbranch_execz .LBB2_358
; %bb.356:
	v_mov_b32_e32 v8, 0
	global_load_dwordx2 v[0:1], v8, s[10:11] offset:40
	global_load_dwordx2 v[11:12], v8, s[10:11] offset:24 glc
	global_load_dwordx2 v[4:5], v8, s[10:11]
	s_waitcnt vmcnt(2)
	v_readfirstlane_b32 s14, v0
	v_readfirstlane_b32 s15, v1
	s_add_u32 s16, s14, 1
	s_addc_u32 s17, s15, 0
	s_add_u32 s0, s16, s2
	s_addc_u32 s1, s17, s3
	s_cmp_eq_u64 s[0:1], 0
	s_cselect_b32 s1, s17, s1
	s_cselect_b32 s0, s16, s0
	s_and_b64 s[2:3], s[0:1], s[14:15]
	s_mul_i32 s3, s3, 24
	s_mul_hi_u32 s14, s2, 24
	s_mul_i32 s2, s2, 24
	s_add_i32 s3, s14, s3
	v_mov_b32_e32 v1, s3
	s_waitcnt vmcnt(0)
	v_add_co_u32_e32 v0, vcc, s2, v4
	v_addc_co_u32_e32 v1, vcc, v5, v1, vcc
	v_mov_b32_e32 v9, s0
	global_store_dwordx2 v[0:1], v[11:12], off
	v_mov_b32_e32 v10, s1
	s_waitcnt vmcnt(0)
	global_atomic_cmpswap_x2 v[6:7], v8, v[9:12], s[10:11] offset:24 glc
	s_mov_b64 s[2:3], 0
	s_waitcnt vmcnt(0)
	v_cmp_ne_u64_e32 vcc, v[6:7], v[11:12]
	s_and_b64 exec, exec, vcc
	s_cbranch_execz .LBB2_358
.LBB2_357:                              ; =>This Inner Loop Header: Depth=1
	s_sleep 1
	global_store_dwordx2 v[0:1], v[6:7], off
	v_mov_b32_e32 v4, s0
	v_mov_b32_e32 v5, s1
	s_waitcnt vmcnt(0)
	global_atomic_cmpswap_x2 v[4:5], v8, v[4:7], s[10:11] offset:24 glc
	s_waitcnt vmcnt(0)
	v_cmp_eq_u64_e32 vcc, v[4:5], v[6:7]
	v_mov_b32_e32 v7, v5
	s_or_b64 s[2:3], vcc, s[2:3]
	v_mov_b32_e32 v6, v4
	s_andn2_b64 exec, exec, s[2:3]
	s_cbranch_execnz .LBB2_357
.LBB2_358:
	s_or_b64 exec, exec, s[12:13]
.LBB2_359:
	v_readfirstlane_b32 s0, v31
	s_waitcnt vmcnt(0)
	v_mov_b32_e32 v0, 0
	v_mov_b32_e32 v1, 0
	v_cmp_eq_u32_e64 s[0:1], s0, v31
	s_and_saveexec_b64 s[2:3], s[0:1]
	s_cbranch_execz .LBB2_365
; %bb.360:
	v_mov_b32_e32 v4, 0
	global_load_dwordx2 v[7:8], v4, s[10:11] offset:24 glc
	s_waitcnt vmcnt(0)
	buffer_wbinvl1_vol
	global_load_dwordx2 v[0:1], v4, s[10:11] offset:40
	global_load_dwordx2 v[5:6], v4, s[10:11]
	s_waitcnt vmcnt(1)
	v_and_b32_e32 v0, v0, v7
	v_and_b32_e32 v1, v1, v8
	v_mul_lo_u32 v1, v1, 24
	v_mul_hi_u32 v9, v0, 24
	v_mul_lo_u32 v0, v0, 24
	v_add_u32_e32 v1, v9, v1
	s_waitcnt vmcnt(0)
	v_add_co_u32_e32 v0, vcc, v5, v0
	v_addc_co_u32_e32 v1, vcc, v6, v1, vcc
	global_load_dwordx2 v[5:6], v[0:1], off glc
	s_waitcnt vmcnt(0)
	global_atomic_cmpswap_x2 v[0:1], v4, v[5:8], s[10:11] offset:24 glc
	s_waitcnt vmcnt(0)
	buffer_wbinvl1_vol
	v_cmp_ne_u64_e32 vcc, v[0:1], v[7:8]
	s_and_saveexec_b64 s[12:13], vcc
	s_cbranch_execz .LBB2_364
; %bb.361:
	s_mov_b64 s[14:15], 0
.LBB2_362:                              ; =>This Inner Loop Header: Depth=1
	s_sleep 1
	global_load_dwordx2 v[5:6], v4, s[10:11] offset:40
	global_load_dwordx2 v[9:10], v4, s[10:11]
	v_mov_b32_e32 v8, v1
	v_mov_b32_e32 v7, v0
	s_waitcnt vmcnt(1)
	v_and_b32_e32 v0, v5, v7
	s_waitcnt vmcnt(0)
	v_mad_u64_u32 v[0:1], s[16:17], v0, 24, v[9:10]
	v_and_b32_e32 v5, v6, v8
	v_mad_u64_u32 v[5:6], s[16:17], v5, 24, v[1:2]
	v_mov_b32_e32 v1, v5
	global_load_dwordx2 v[5:6], v[0:1], off glc
	s_waitcnt vmcnt(0)
	global_atomic_cmpswap_x2 v[0:1], v4, v[5:8], s[10:11] offset:24 glc
	s_waitcnt vmcnt(0)
	buffer_wbinvl1_vol
	v_cmp_eq_u64_e32 vcc, v[0:1], v[7:8]
	s_or_b64 s[14:15], vcc, s[14:15]
	s_andn2_b64 exec, exec, s[14:15]
	s_cbranch_execnz .LBB2_362
; %bb.363:
	s_or_b64 exec, exec, s[14:15]
.LBB2_364:
	s_or_b64 exec, exec, s[12:13]
.LBB2_365:
	s_or_b64 exec, exec, s[2:3]
	v_mov_b32_e32 v5, 0
	global_load_dwordx2 v[10:11], v5, s[10:11] offset:40
	global_load_dwordx4 v[6:9], v5, s[10:11]
	v_readfirstlane_b32 s3, v1
	v_readfirstlane_b32 s2, v0
	s_mov_b64 s[12:13], exec
	s_waitcnt vmcnt(1)
	v_readfirstlane_b32 s14, v10
	v_readfirstlane_b32 s15, v11
	s_and_b64 s[14:15], s[14:15], s[2:3]
	s_mul_i32 s16, s15, 24
	s_mul_hi_u32 s17, s14, 24
	s_mul_i32 s18, s14, 24
	s_add_i32 s16, s17, s16
	v_mov_b32_e32 v0, s16
	s_waitcnt vmcnt(0)
	v_add_co_u32_e32 v10, vcc, s18, v6
	v_addc_co_u32_e32 v11, vcc, v7, v0, vcc
	s_and_saveexec_b64 s[16:17], s[0:1]
	s_cbranch_execz .LBB2_367
; %bb.366:
	v_mov_b32_e32 v12, s12
	v_mov_b32_e32 v13, s13
	;; [unrolled: 1-line block ×4, first 2 shown]
	global_store_dwordx4 v[10:11], v[12:15], off offset:8
.LBB2_367:
	s_or_b64 exec, exec, s[16:17]
	s_lshl_b64 s[12:13], s[14:15], 12
	v_mov_b32_e32 v0, s13
	v_add_co_u32_e32 v1, vcc, s12, v8
	v_addc_co_u32_e32 v0, vcc, v9, v0, vcc
	s_lshr_b32 s13, s26, 1
	s_movk_i32 s14, 0xff1f
	s_mov_b32 s12, 0
	v_and_or_b32 v2, v2, s14, 32
	v_add_co_u32_e32 v8, vcc, v1, v30
	v_mov_b32_e32 v4, s13
	v_readfirstlane_b32 s16, v1
	v_readfirstlane_b32 s17, v0
	v_addc_co_u32_e32 v9, vcc, 0, v0, vcc
	s_mov_b32 s13, s12
	s_mov_b32 s14, s12
	;; [unrolled: 1-line block ×3, first 2 shown]
	s_nop 0
	global_store_dwordx4 v30, v[2:5], s[16:17]
	v_mov_b32_e32 v0, s12
	v_mov_b32_e32 v1, s13
	;; [unrolled: 1-line block ×4, first 2 shown]
	global_store_dwordx4 v30, v[0:3], s[16:17] offset:16
	global_store_dwordx4 v30, v[0:3], s[16:17] offset:32
	;; [unrolled: 1-line block ×3, first 2 shown]
	s_and_saveexec_b64 s[12:13], s[0:1]
	s_cbranch_execz .LBB2_375
; %bb.368:
	v_mov_b32_e32 v12, 0
	global_load_dwordx2 v[15:16], v12, s[10:11] offset:32 glc
	global_load_dwordx2 v[0:1], v12, s[10:11] offset:40
	v_mov_b32_e32 v13, s2
	v_mov_b32_e32 v14, s3
	s_waitcnt vmcnt(0)
	v_readfirstlane_b32 s14, v0
	v_readfirstlane_b32 s15, v1
	s_and_b64 s[14:15], s[14:15], s[2:3]
	s_mul_i32 s15, s15, 24
	s_mul_hi_u32 s16, s14, 24
	s_mul_i32 s14, s14, 24
	s_add_i32 s15, s16, s15
	v_mov_b32_e32 v0, s15
	v_add_co_u32_e32 v4, vcc, s14, v6
	v_addc_co_u32_e32 v5, vcc, v7, v0, vcc
	global_store_dwordx2 v[4:5], v[15:16], off
	s_waitcnt vmcnt(0)
	global_atomic_cmpswap_x2 v[2:3], v12, v[13:16], s[10:11] offset:32 glc
	s_waitcnt vmcnt(0)
	v_cmp_ne_u64_e32 vcc, v[2:3], v[15:16]
	s_and_saveexec_b64 s[14:15], vcc
	s_cbranch_execz .LBB2_371
; %bb.369:
	s_mov_b64 s[16:17], 0
.LBB2_370:                              ; =>This Inner Loop Header: Depth=1
	s_sleep 1
	global_store_dwordx2 v[4:5], v[2:3], off
	v_mov_b32_e32 v0, s2
	v_mov_b32_e32 v1, s3
	s_waitcnt vmcnt(0)
	global_atomic_cmpswap_x2 v[0:1], v12, v[0:3], s[10:11] offset:32 glc
	s_waitcnt vmcnt(0)
	v_cmp_eq_u64_e32 vcc, v[0:1], v[2:3]
	v_mov_b32_e32 v3, v1
	s_or_b64 s[16:17], vcc, s[16:17]
	v_mov_b32_e32 v2, v0
	s_andn2_b64 exec, exec, s[16:17]
	s_cbranch_execnz .LBB2_370
.LBB2_371:
	s_or_b64 exec, exec, s[14:15]
	v_mov_b32_e32 v3, 0
	global_load_dwordx2 v[0:1], v3, s[10:11] offset:16
	s_mov_b64 s[14:15], exec
	v_mbcnt_lo_u32_b32 v2, s14, 0
	v_mbcnt_hi_u32_b32 v2, s15, v2
	v_cmp_eq_u32_e32 vcc, 0, v2
	s_and_saveexec_b64 s[16:17], vcc
	s_cbranch_execz .LBB2_373
; %bb.372:
	s_bcnt1_i32_b64 s14, s[14:15]
	v_mov_b32_e32 v2, s14
	s_waitcnt vmcnt(0)
	global_atomic_add_x2 v[0:1], v[2:3], off offset:8
.LBB2_373:
	s_or_b64 exec, exec, s[16:17]
	s_waitcnt vmcnt(0)
	global_load_dwordx2 v[2:3], v[0:1], off offset:16
	s_waitcnt vmcnt(0)
	v_cmp_eq_u64_e32 vcc, 0, v[2:3]
	s_cbranch_vccnz .LBB2_375
; %bb.374:
	global_load_dword v0, v[0:1], off offset:24
	v_mov_b32_e32 v1, 0
	s_waitcnt vmcnt(0)
	v_readfirstlane_b32 s14, v0
	s_and_b32 m0, s14, 0xffffff
	global_store_dwordx2 v[2:3], v[0:1], off
	s_sendmsg sendmsg(MSG_INTERRUPT)
.LBB2_375:
	s_or_b64 exec, exec, s[12:13]
	s_branch .LBB2_379
.LBB2_376:                              ;   in Loop: Header=BB2_379 Depth=1
	s_or_b64 exec, exec, s[12:13]
	v_readfirstlane_b32 s12, v0
	s_cmp_eq_u32 s12, 0
	s_cbranch_scc1 .LBB2_378
; %bb.377:                              ;   in Loop: Header=BB2_379 Depth=1
	s_sleep 1
	s_cbranch_execnz .LBB2_379
	s_branch .LBB2_381
.LBB2_378:
	s_branch .LBB2_381
.LBB2_379:                              ; =>This Inner Loop Header: Depth=1
	v_mov_b32_e32 v0, 1
	s_and_saveexec_b64 s[12:13], s[0:1]
	s_cbranch_execz .LBB2_376
; %bb.380:                              ;   in Loop: Header=BB2_379 Depth=1
	global_load_dword v0, v[10:11], off offset:20 glc
	s_waitcnt vmcnt(0)
	buffer_wbinvl1_vol
	v_and_b32_e32 v0, 1, v0
	s_branch .LBB2_376
.LBB2_381:
	global_load_dwordx2 v[0:1], v[8:9], off
	s_and_saveexec_b64 s[12:13], s[0:1]
	s_cbranch_execz .LBB2_384
; %bb.382:
	v_mov_b32_e32 v8, 0
	global_load_dwordx2 v[2:3], v8, s[10:11] offset:40
	global_load_dwordx2 v[11:12], v8, s[10:11] offset:24 glc
	global_load_dwordx2 v[4:5], v8, s[10:11]
	s_waitcnt vmcnt(2)
	v_readfirstlane_b32 s14, v2
	v_readfirstlane_b32 s15, v3
	s_add_u32 s16, s14, 1
	s_addc_u32 s17, s15, 0
	s_add_u32 s0, s16, s2
	s_addc_u32 s1, s17, s3
	s_cmp_eq_u64 s[0:1], 0
	s_cselect_b32 s1, s17, s1
	s_cselect_b32 s0, s16, s0
	s_and_b64 s[2:3], s[0:1], s[14:15]
	s_mul_i32 s3, s3, 24
	s_mul_hi_u32 s14, s2, 24
	s_mul_i32 s2, s2, 24
	s_add_i32 s3, s14, s3
	v_mov_b32_e32 v2, s3
	s_waitcnt vmcnt(0)
	v_add_co_u32_e32 v6, vcc, s2, v4
	v_addc_co_u32_e32 v7, vcc, v5, v2, vcc
	v_mov_b32_e32 v9, s0
	global_store_dwordx2 v[6:7], v[11:12], off
	v_mov_b32_e32 v10, s1
	s_waitcnt vmcnt(0)
	global_atomic_cmpswap_x2 v[4:5], v8, v[9:12], s[10:11] offset:24 glc
	s_mov_b64 s[2:3], 0
	s_waitcnt vmcnt(0)
	v_cmp_ne_u64_e32 vcc, v[4:5], v[11:12]
	s_and_b64 exec, exec, vcc
	s_cbranch_execz .LBB2_384
.LBB2_383:                              ; =>This Inner Loop Header: Depth=1
	s_sleep 1
	global_store_dwordx2 v[6:7], v[4:5], off
	v_mov_b32_e32 v2, s0
	v_mov_b32_e32 v3, s1
	s_waitcnt vmcnt(0)
	global_atomic_cmpswap_x2 v[2:3], v8, v[2:5], s[10:11] offset:24 glc
	s_waitcnt vmcnt(0)
	v_cmp_eq_u64_e32 vcc, v[2:3], v[4:5]
	v_mov_b32_e32 v5, v3
	s_or_b64 s[2:3], vcc, s[2:3]
	v_mov_b32_e32 v4, v2
	s_andn2_b64 exec, exec, s[2:3]
	s_cbranch_execnz .LBB2_383
.LBB2_384:
	s_or_b64 exec, exec, s[12:13]
	v_readfirstlane_b32 s0, v31
	v_mov_b32_e32 v8, 0
	v_mov_b32_e32 v9, 0
	v_cmp_eq_u32_e64 s[0:1], s0, v31
	s_and_saveexec_b64 s[2:3], s[0:1]
	s_cbranch_execz .LBB2_390
; %bb.385:
	v_mov_b32_e32 v2, 0
	global_load_dwordx2 v[5:6], v2, s[10:11] offset:24 glc
	s_waitcnt vmcnt(0)
	buffer_wbinvl1_vol
	global_load_dwordx2 v[3:4], v2, s[10:11] offset:40
	global_load_dwordx2 v[7:8], v2, s[10:11]
	s_waitcnt vmcnt(1)
	v_and_b32_e32 v3, v3, v5
	v_and_b32_e32 v4, v4, v6
	v_mul_lo_u32 v4, v4, 24
	v_mul_hi_u32 v9, v3, 24
	v_mul_lo_u32 v3, v3, 24
	v_add_u32_e32 v4, v9, v4
	s_waitcnt vmcnt(0)
	v_add_co_u32_e32 v3, vcc, v7, v3
	v_addc_co_u32_e32 v4, vcc, v8, v4, vcc
	global_load_dwordx2 v[3:4], v[3:4], off glc
	s_waitcnt vmcnt(0)
	global_atomic_cmpswap_x2 v[8:9], v2, v[3:6], s[10:11] offset:24 glc
	s_waitcnt vmcnt(0)
	buffer_wbinvl1_vol
	v_cmp_ne_u64_e32 vcc, v[8:9], v[5:6]
	s_and_saveexec_b64 s[12:13], vcc
	s_cbranch_execz .LBB2_389
; %bb.386:
	s_mov_b64 s[14:15], 0
.LBB2_387:                              ; =>This Inner Loop Header: Depth=1
	s_sleep 1
	global_load_dwordx2 v[3:4], v2, s[10:11] offset:40
	global_load_dwordx2 v[10:11], v2, s[10:11]
	v_mov_b32_e32 v5, v8
	v_mov_b32_e32 v6, v9
	s_waitcnt vmcnt(1)
	v_and_b32_e32 v3, v3, v5
	s_waitcnt vmcnt(0)
	v_mad_u64_u32 v[7:8], s[16:17], v3, 24, v[10:11]
	v_and_b32_e32 v4, v4, v6
	v_mov_b32_e32 v3, v8
	v_mad_u64_u32 v[3:4], s[16:17], v4, 24, v[3:4]
	v_mov_b32_e32 v8, v3
	global_load_dwordx2 v[3:4], v[7:8], off glc
	s_waitcnt vmcnt(0)
	global_atomic_cmpswap_x2 v[8:9], v2, v[3:6], s[10:11] offset:24 glc
	s_waitcnt vmcnt(0)
	buffer_wbinvl1_vol
	v_cmp_eq_u64_e32 vcc, v[8:9], v[5:6]
	s_or_b64 s[14:15], vcc, s[14:15]
	s_andn2_b64 exec, exec, s[14:15]
	s_cbranch_execnz .LBB2_387
; %bb.388:
	s_or_b64 exec, exec, s[14:15]
.LBB2_389:
	s_or_b64 exec, exec, s[12:13]
.LBB2_390:
	s_or_b64 exec, exec, s[2:3]
	v_mov_b32_e32 v3, 0
	global_load_dwordx2 v[10:11], v3, s[10:11] offset:40
	global_load_dwordx4 v[4:7], v3, s[10:11]
	v_readfirstlane_b32 s3, v9
	v_readfirstlane_b32 s2, v8
	s_mov_b64 s[12:13], exec
	s_waitcnt vmcnt(1)
	v_readfirstlane_b32 s14, v10
	v_readfirstlane_b32 s15, v11
	s_and_b64 s[14:15], s[14:15], s[2:3]
	s_mul_i32 s16, s15, 24
	s_mul_hi_u32 s17, s14, 24
	s_mul_i32 s18, s14, 24
	s_add_i32 s16, s17, s16
	v_mov_b32_e32 v2, s16
	s_waitcnt vmcnt(0)
	v_add_co_u32_e32 v8, vcc, s18, v4
	v_addc_co_u32_e32 v9, vcc, v5, v2, vcc
	s_and_saveexec_b64 s[16:17], s[0:1]
	s_cbranch_execz .LBB2_392
; %bb.391:
	v_mov_b32_e32 v10, s12
	v_mov_b32_e32 v11, s13
	v_mov_b32_e32 v12, 2
	v_mov_b32_e32 v13, 1
	global_store_dwordx4 v[8:9], v[10:13], off offset:8
.LBB2_392:
	s_or_b64 exec, exec, s[16:17]
	s_lshl_b64 s[12:13], s[14:15], 12
	v_mov_b32_e32 v2, s13
	v_add_co_u32_e32 v6, vcc, s12, v6
	v_addc_co_u32_e32 v7, vcc, v7, v2, vcc
	s_movk_i32 s12, 0xff1d
	v_and_or_b32 v0, v0, s12, 34
	s_mov_b32 s12, 0
	v_mov_b32_e32 v2, 2
	v_readfirstlane_b32 s16, v6
	v_readfirstlane_b32 s17, v7
	s_mov_b32 s13, s12
	s_mov_b32 s14, s12
	;; [unrolled: 1-line block ×3, first 2 shown]
	s_nop 1
	global_store_dwordx4 v30, v[0:3], s[16:17]
	s_nop 0
	v_mov_b32_e32 v0, s12
	v_mov_b32_e32 v1, s13
	;; [unrolled: 1-line block ×4, first 2 shown]
	global_store_dwordx4 v30, v[0:3], s[16:17] offset:16
	global_store_dwordx4 v30, v[0:3], s[16:17] offset:32
	;; [unrolled: 1-line block ×3, first 2 shown]
	s_and_saveexec_b64 s[12:13], s[0:1]
	s_cbranch_execz .LBB2_400
; %bb.393:
	v_mov_b32_e32 v6, 0
	global_load_dwordx2 v[12:13], v6, s[10:11] offset:32 glc
	global_load_dwordx2 v[0:1], v6, s[10:11] offset:40
	v_mov_b32_e32 v10, s2
	v_mov_b32_e32 v11, s3
	s_waitcnt vmcnt(0)
	v_readfirstlane_b32 s14, v0
	v_readfirstlane_b32 s15, v1
	s_and_b64 s[14:15], s[14:15], s[2:3]
	s_mul_i32 s15, s15, 24
	s_mul_hi_u32 s16, s14, 24
	s_mul_i32 s14, s14, 24
	s_add_i32 s15, s16, s15
	v_mov_b32_e32 v0, s15
	v_add_co_u32_e32 v4, vcc, s14, v4
	v_addc_co_u32_e32 v5, vcc, v5, v0, vcc
	global_store_dwordx2 v[4:5], v[12:13], off
	s_waitcnt vmcnt(0)
	global_atomic_cmpswap_x2 v[2:3], v6, v[10:13], s[10:11] offset:32 glc
	s_waitcnt vmcnt(0)
	v_cmp_ne_u64_e32 vcc, v[2:3], v[12:13]
	s_and_saveexec_b64 s[14:15], vcc
	s_cbranch_execz .LBB2_396
; %bb.394:
	s_mov_b64 s[16:17], 0
.LBB2_395:                              ; =>This Inner Loop Header: Depth=1
	s_sleep 1
	global_store_dwordx2 v[4:5], v[2:3], off
	v_mov_b32_e32 v0, s2
	v_mov_b32_e32 v1, s3
	s_waitcnt vmcnt(0)
	global_atomic_cmpswap_x2 v[0:1], v6, v[0:3], s[10:11] offset:32 glc
	s_waitcnt vmcnt(0)
	v_cmp_eq_u64_e32 vcc, v[0:1], v[2:3]
	v_mov_b32_e32 v3, v1
	s_or_b64 s[16:17], vcc, s[16:17]
	v_mov_b32_e32 v2, v0
	s_andn2_b64 exec, exec, s[16:17]
	s_cbranch_execnz .LBB2_395
.LBB2_396:
	s_or_b64 exec, exec, s[14:15]
	v_mov_b32_e32 v3, 0
	global_load_dwordx2 v[0:1], v3, s[10:11] offset:16
	s_mov_b64 s[14:15], exec
	v_mbcnt_lo_u32_b32 v2, s14, 0
	v_mbcnt_hi_u32_b32 v2, s15, v2
	v_cmp_eq_u32_e32 vcc, 0, v2
	s_and_saveexec_b64 s[16:17], vcc
	s_cbranch_execz .LBB2_398
; %bb.397:
	s_bcnt1_i32_b64 s14, s[14:15]
	v_mov_b32_e32 v2, s14
	s_waitcnt vmcnt(0)
	global_atomic_add_x2 v[0:1], v[2:3], off offset:8
.LBB2_398:
	s_or_b64 exec, exec, s[16:17]
	s_waitcnt vmcnt(0)
	global_load_dwordx2 v[2:3], v[0:1], off offset:16
	s_waitcnt vmcnt(0)
	v_cmp_eq_u64_e32 vcc, 0, v[2:3]
	s_cbranch_vccnz .LBB2_400
; %bb.399:
	global_load_dword v0, v[0:1], off offset:24
	v_mov_b32_e32 v1, 0
	s_waitcnt vmcnt(0)
	v_readfirstlane_b32 s14, v0
	s_and_b32 m0, s14, 0xffffff
	global_store_dwordx2 v[2:3], v[0:1], off
	s_sendmsg sendmsg(MSG_INTERRUPT)
.LBB2_400:
	s_or_b64 exec, exec, s[12:13]
	s_branch .LBB2_404
.LBB2_401:                              ;   in Loop: Header=BB2_404 Depth=1
	s_or_b64 exec, exec, s[12:13]
	v_readfirstlane_b32 s12, v0
	s_cmp_eq_u32 s12, 0
	s_cbranch_scc1 .LBB2_403
; %bb.402:                              ;   in Loop: Header=BB2_404 Depth=1
	s_sleep 1
	s_cbranch_execnz .LBB2_404
	s_branch .LBB2_406
.LBB2_403:
	s_branch .LBB2_406
.LBB2_404:                              ; =>This Inner Loop Header: Depth=1
	v_mov_b32_e32 v0, 1
	s_and_saveexec_b64 s[12:13], s[0:1]
	s_cbranch_execz .LBB2_401
; %bb.405:                              ;   in Loop: Header=BB2_404 Depth=1
	global_load_dword v0, v[8:9], off offset:20 glc
	s_waitcnt vmcnt(0)
	buffer_wbinvl1_vol
	v_and_b32_e32 v0, 1, v0
	s_branch .LBB2_401
.LBB2_406:
	s_and_b64 exec, exec, s[0:1]
	s_cbranch_execz .LBB2_409
; %bb.407:
	v_mov_b32_e32 v6, 0
	global_load_dwordx2 v[0:1], v6, s[10:11] offset:40
	global_load_dwordx2 v[9:10], v6, s[10:11] offset:24 glc
	global_load_dwordx2 v[2:3], v6, s[10:11]
	s_waitcnt vmcnt(2)
	v_readfirstlane_b32 s12, v0
	v_readfirstlane_b32 s13, v1
	s_add_u32 s14, s12, 1
	s_addc_u32 s15, s13, 0
	s_add_u32 s0, s14, s2
	s_addc_u32 s1, s15, s3
	s_cmp_eq_u64 s[0:1], 0
	s_cselect_b32 s1, s15, s1
	s_cselect_b32 s0, s14, s0
	s_and_b64 s[2:3], s[0:1], s[12:13]
	s_mul_i32 s3, s3, 24
	s_mul_hi_u32 s12, s2, 24
	s_mul_i32 s2, s2, 24
	s_add_i32 s3, s12, s3
	v_mov_b32_e32 v0, s3
	s_waitcnt vmcnt(0)
	v_add_co_u32_e32 v4, vcc, s2, v2
	v_addc_co_u32_e32 v5, vcc, v3, v0, vcc
	v_mov_b32_e32 v7, s0
	global_store_dwordx2 v[4:5], v[9:10], off
	v_mov_b32_e32 v8, s1
	s_waitcnt vmcnt(0)
	global_atomic_cmpswap_x2 v[2:3], v6, v[7:10], s[10:11] offset:24 glc
	s_mov_b64 s[2:3], 0
	s_waitcnt vmcnt(0)
	v_cmp_ne_u64_e32 vcc, v[2:3], v[9:10]
	s_and_b64 exec, exec, vcc
	s_cbranch_execz .LBB2_409
.LBB2_408:                              ; =>This Inner Loop Header: Depth=1
	s_sleep 1
	global_store_dwordx2 v[4:5], v[2:3], off
	v_mov_b32_e32 v0, s0
	v_mov_b32_e32 v1, s1
	s_waitcnt vmcnt(0)
	global_atomic_cmpswap_x2 v[0:1], v6, v[0:3], s[10:11] offset:24 glc
	s_waitcnt vmcnt(0)
	v_cmp_eq_u64_e32 vcc, v[0:1], v[2:3]
	v_mov_b32_e32 v3, v1
	s_or_b64 s[2:3], vcc, s[2:3]
	v_mov_b32_e32 v2, v0
	s_andn2_b64 exec, exec, s[2:3]
	s_cbranch_execnz .LBB2_408
.LBB2_409:
	s_or_b64 exec, exec, s[8:9]
	v_and_b32_e32 v0, -2, v29
	v_ashrrev_i32_e32 v1, 31, v0
	v_lshlrev_b64 v[0:1], 2, v[0:1]
	v_and_b32_e32 v4, 1, v29
	v_mov_b32_e32 v2, s27
	v_add_co_u32_e32 v0, vcc, s28, v0
	v_addc_co_u32_e32 v1, vcc, v2, v1, vcc
	v_lshlrev_b32_e32 v2, 2, v4
	v_add_co_u32_e32 v2, vcc, v0, v2
	v_addc_co_u32_e32 v3, vcc, 0, v1, vcc
	s_waitcnt vmcnt(0) lgkmcnt(0)
	s_barrier
	flat_store_dword v[2:3], v29
	v_cmp_eq_u32_e32 vcc, 0, v4
	v_mov_b32_e32 v2, -1
	s_waitcnt vmcnt(0) lgkmcnt(0)
	buffer_wbinvl1_vol
	s_and_saveexec_b64 s[0:1], vcc
	s_cbranch_execnz .LBB2_412
; %bb.410:
	s_or_b64 exec, exec, s[0:1]
	buffer_wbinvl1_vol
	s_and_saveexec_b64 s[0:1], vcc
	s_cbranch_execnz .LBB2_413
.LBB2_411:
	s_endpgm
.LBB2_412:
	flat_load_dword v0, v[0:1] offset:4
	s_waitcnt vmcnt(0) lgkmcnt(0)
	v_add_u32_e32 v2, v0, v29
	s_or_b64 exec, exec, s[0:1]
	buffer_wbinvl1_vol
	s_and_saveexec_b64 s[0:1], vcc
	s_cbranch_execz .LBB2_411
.LBB2_413:
	s_load_dwordx2 s[2:3], s[6:7], 0x50
	v_mbcnt_lo_u32_b32 v0, -1, 0
	v_mbcnt_hi_u32_b32 v33, -1, v0
	v_readfirstlane_b32 s0, v33
	v_mov_b32_e32 v0, 0
	v_mov_b32_e32 v1, 0
	v_cmp_eq_u32_e64 s[0:1], s0, v33
	s_and_saveexec_b64 s[6:7], s[0:1]
	s_cbranch_execz .LBB2_419
; %bb.414:
	v_mov_b32_e32 v3, 0
	s_waitcnt lgkmcnt(0)
	global_load_dwordx2 v[6:7], v3, s[2:3] offset:24 glc
	s_waitcnt vmcnt(0)
	buffer_wbinvl1_vol
	global_load_dwordx2 v[0:1], v3, s[2:3] offset:40
	global_load_dwordx2 v[4:5], v3, s[2:3]
	s_waitcnt vmcnt(1)
	v_and_b32_e32 v0, v0, v6
	v_and_b32_e32 v1, v1, v7
	v_mul_lo_u32 v1, v1, 24
	v_mul_hi_u32 v8, v0, 24
	v_mul_lo_u32 v0, v0, 24
	v_add_u32_e32 v1, v8, v1
	s_waitcnt vmcnt(0)
	v_add_co_u32_e32 v0, vcc, v4, v0
	v_addc_co_u32_e32 v1, vcc, v5, v1, vcc
	global_load_dwordx2 v[4:5], v[0:1], off glc
	s_waitcnt vmcnt(0)
	global_atomic_cmpswap_x2 v[0:1], v3, v[4:7], s[2:3] offset:24 glc
	s_waitcnt vmcnt(0)
	buffer_wbinvl1_vol
	v_cmp_ne_u64_e32 vcc, v[0:1], v[6:7]
	s_and_saveexec_b64 s[8:9], vcc
	s_cbranch_execz .LBB2_418
; %bb.415:
	s_mov_b64 s[10:11], 0
.LBB2_416:                              ; =>This Inner Loop Header: Depth=1
	s_sleep 1
	global_load_dwordx2 v[4:5], v3, s[2:3] offset:40
	global_load_dwordx2 v[8:9], v3, s[2:3]
	v_mov_b32_e32 v7, v1
	v_mov_b32_e32 v6, v0
	s_waitcnt vmcnt(1)
	v_and_b32_e32 v0, v4, v6
	s_waitcnt vmcnt(0)
	v_mad_u64_u32 v[0:1], s[12:13], v0, 24, v[8:9]
	v_and_b32_e32 v4, v5, v7
	v_mad_u64_u32 v[4:5], s[12:13], v4, 24, v[1:2]
	v_mov_b32_e32 v1, v4
	global_load_dwordx2 v[4:5], v[0:1], off glc
	s_waitcnt vmcnt(0)
	global_atomic_cmpswap_x2 v[0:1], v3, v[4:7], s[2:3] offset:24 glc
	s_waitcnt vmcnt(0)
	buffer_wbinvl1_vol
	v_cmp_eq_u64_e32 vcc, v[0:1], v[6:7]
	s_or_b64 s[10:11], vcc, s[10:11]
	s_andn2_b64 exec, exec, s[10:11]
	s_cbranch_execnz .LBB2_416
; %bb.417:
	s_or_b64 exec, exec, s[10:11]
.LBB2_418:
	s_or_b64 exec, exec, s[8:9]
.LBB2_419:
	s_or_b64 exec, exec, s[6:7]
	v_mov_b32_e32 v7, 0
	s_waitcnt lgkmcnt(0)
	global_load_dwordx2 v[8:9], v7, s[2:3] offset:40
	global_load_dwordx4 v[3:6], v7, s[2:3]
	v_readfirstlane_b32 s7, v1
	v_readfirstlane_b32 s6, v0
	s_mov_b64 s[8:9], exec
	s_waitcnt vmcnt(1)
	v_readfirstlane_b32 s10, v8
	v_readfirstlane_b32 s11, v9
	s_and_b64 s[10:11], s[10:11], s[6:7]
	s_mul_i32 s12, s11, 24
	s_mul_hi_u32 s13, s10, 24
	s_mul_i32 s14, s10, 24
	s_add_i32 s12, s13, s12
	v_mov_b32_e32 v1, s12
	s_waitcnt vmcnt(0)
	v_add_co_u32_e32 v0, vcc, s14, v3
	v_addc_co_u32_e32 v1, vcc, v4, v1, vcc
	s_and_saveexec_b64 s[12:13], s[0:1]
	s_cbranch_execz .LBB2_421
; %bb.420:
	v_mov_b32_e32 v8, s8
	v_mov_b32_e32 v9, s9
	;; [unrolled: 1-line block ×4, first 2 shown]
	global_store_dwordx4 v[0:1], v[8:11], off offset:8
.LBB2_421:
	s_or_b64 exec, exec, s[12:13]
	s_lshl_b64 s[8:9], s[10:11], 12
	v_mov_b32_e32 v8, s9
	v_add_co_u32_e32 v5, vcc, s8, v5
	v_addc_co_u32_e32 v12, vcc, v6, v8, vcc
	v_lshlrev_b32_e32 v32, 6, v33
	s_mov_b32 s8, 0
	v_mov_b32_e32 v6, 33
	v_mov_b32_e32 v8, v7
	;; [unrolled: 1-line block ×3, first 2 shown]
	v_readfirstlane_b32 s12, v5
	v_readfirstlane_b32 s13, v12
	v_add_co_u32_e32 v10, vcc, v5, v32
	s_mov_b32 s9, s8
	s_mov_b32 s10, s8
	s_mov_b32 s11, s8
	s_nop 0
	global_store_dwordx4 v32, v[6:9], s[12:13]
	v_mov_b32_e32 v5, s8
	v_addc_co_u32_e32 v11, vcc, 0, v12, vcc
	v_mov_b32_e32 v6, s9
	v_mov_b32_e32 v7, s10
	;; [unrolled: 1-line block ×3, first 2 shown]
	global_store_dwordx4 v32, v[5:8], s[12:13] offset:16
	global_store_dwordx4 v32, v[5:8], s[12:13] offset:32
	;; [unrolled: 1-line block ×3, first 2 shown]
	s_and_saveexec_b64 s[8:9], s[0:1]
	s_cbranch_execz .LBB2_429
; %bb.422:
	v_mov_b32_e32 v9, 0
	global_load_dwordx2 v[14:15], v9, s[2:3] offset:32 glc
	global_load_dwordx2 v[5:6], v9, s[2:3] offset:40
	v_mov_b32_e32 v12, s6
	v_mov_b32_e32 v13, s7
	s_waitcnt vmcnt(0)
	v_and_b32_e32 v5, s6, v5
	v_and_b32_e32 v6, s7, v6
	v_mul_lo_u32 v6, v6, 24
	v_mul_hi_u32 v7, v5, 24
	v_mul_lo_u32 v5, v5, 24
	v_add_u32_e32 v6, v7, v6
	v_add_co_u32_e32 v7, vcc, v3, v5
	v_addc_co_u32_e32 v8, vcc, v4, v6, vcc
	global_store_dwordx2 v[7:8], v[14:15], off
	s_waitcnt vmcnt(0)
	global_atomic_cmpswap_x2 v[5:6], v9, v[12:15], s[2:3] offset:32 glc
	s_waitcnt vmcnt(0)
	v_cmp_ne_u64_e32 vcc, v[5:6], v[14:15]
	s_and_saveexec_b64 s[10:11], vcc
	s_cbranch_execz .LBB2_425
; %bb.423:
	s_mov_b64 s[12:13], 0
.LBB2_424:                              ; =>This Inner Loop Header: Depth=1
	s_sleep 1
	global_store_dwordx2 v[7:8], v[5:6], off
	v_mov_b32_e32 v3, s6
	v_mov_b32_e32 v4, s7
	s_waitcnt vmcnt(0)
	global_atomic_cmpswap_x2 v[3:4], v9, v[3:6], s[2:3] offset:32 glc
	s_waitcnt vmcnt(0)
	v_cmp_eq_u64_e32 vcc, v[3:4], v[5:6]
	v_mov_b32_e32 v6, v4
	s_or_b64 s[12:13], vcc, s[12:13]
	v_mov_b32_e32 v5, v3
	s_andn2_b64 exec, exec, s[12:13]
	s_cbranch_execnz .LBB2_424
.LBB2_425:
	s_or_b64 exec, exec, s[10:11]
	v_mov_b32_e32 v6, 0
	global_load_dwordx2 v[3:4], v6, s[2:3] offset:16
	s_mov_b64 s[10:11], exec
	v_mbcnt_lo_u32_b32 v5, s10, 0
	v_mbcnt_hi_u32_b32 v5, s11, v5
	v_cmp_eq_u32_e32 vcc, 0, v5
	s_and_saveexec_b64 s[12:13], vcc
	s_cbranch_execz .LBB2_427
; %bb.426:
	s_bcnt1_i32_b64 s10, s[10:11]
	v_mov_b32_e32 v5, s10
	s_waitcnt vmcnt(0)
	global_atomic_add_x2 v[3:4], v[5:6], off offset:8
.LBB2_427:
	s_or_b64 exec, exec, s[12:13]
	s_waitcnt vmcnt(0)
	global_load_dwordx2 v[5:6], v[3:4], off offset:16
	s_waitcnt vmcnt(0)
	v_cmp_eq_u64_e32 vcc, 0, v[5:6]
	s_cbranch_vccnz .LBB2_429
; %bb.428:
	global_load_dword v3, v[3:4], off offset:24
	v_mov_b32_e32 v4, 0
	s_waitcnt vmcnt(0)
	v_readfirstlane_b32 s10, v3
	s_and_b32 m0, s10, 0xffffff
	global_store_dwordx2 v[5:6], v[3:4], off
	s_sendmsg sendmsg(MSG_INTERRUPT)
.LBB2_429:
	s_or_b64 exec, exec, s[8:9]
	s_branch .LBB2_433
.LBB2_430:                              ;   in Loop: Header=BB2_433 Depth=1
	s_or_b64 exec, exec, s[8:9]
	v_readfirstlane_b32 s8, v3
	s_cmp_eq_u32 s8, 0
	s_cbranch_scc1 .LBB2_432
; %bb.431:                              ;   in Loop: Header=BB2_433 Depth=1
	s_sleep 1
	s_cbranch_execnz .LBB2_433
	s_branch .LBB2_435
.LBB2_432:
	s_branch .LBB2_435
.LBB2_433:                              ; =>This Inner Loop Header: Depth=1
	v_mov_b32_e32 v3, 1
	s_and_saveexec_b64 s[8:9], s[0:1]
	s_cbranch_execz .LBB2_430
; %bb.434:                              ;   in Loop: Header=BB2_433 Depth=1
	global_load_dword v3, v[0:1], off offset:20 glc
	s_waitcnt vmcnt(0)
	buffer_wbinvl1_vol
	v_and_b32_e32 v3, 1, v3
	s_branch .LBB2_430
.LBB2_435:
	global_load_dwordx2 v[3:4], v[10:11], off
	s_and_saveexec_b64 s[8:9], s[0:1]
	s_cbranch_execz .LBB2_438
; %bb.436:
	v_mov_b32_e32 v9, 0
	global_load_dwordx2 v[0:1], v9, s[2:3] offset:40
	global_load_dwordx2 v[12:13], v9, s[2:3] offset:24 glc
	global_load_dwordx2 v[5:6], v9, s[2:3]
	s_waitcnt vmcnt(2)
	v_readfirstlane_b32 s10, v0
	v_readfirstlane_b32 s11, v1
	s_add_u32 s12, s10, 1
	s_addc_u32 s13, s11, 0
	s_add_u32 s0, s12, s6
	s_addc_u32 s1, s13, s7
	s_cmp_eq_u64 s[0:1], 0
	s_cselect_b32 s1, s13, s1
	s_cselect_b32 s0, s12, s0
	s_and_b64 s[6:7], s[0:1], s[10:11]
	s_mul_i32 s7, s7, 24
	s_mul_hi_u32 s10, s6, 24
	s_mul_i32 s6, s6, 24
	s_add_i32 s7, s10, s7
	v_mov_b32_e32 v1, s7
	s_waitcnt vmcnt(0)
	v_add_co_u32_e32 v0, vcc, s6, v5
	v_addc_co_u32_e32 v1, vcc, v6, v1, vcc
	v_mov_b32_e32 v10, s0
	global_store_dwordx2 v[0:1], v[12:13], off
	v_mov_b32_e32 v11, s1
	s_waitcnt vmcnt(0)
	global_atomic_cmpswap_x2 v[7:8], v9, v[10:13], s[2:3] offset:24 glc
	s_mov_b64 s[6:7], 0
	s_waitcnt vmcnt(0)
	v_cmp_ne_u64_e32 vcc, v[7:8], v[12:13]
	s_and_b64 exec, exec, vcc
	s_cbranch_execz .LBB2_438
.LBB2_437:                              ; =>This Inner Loop Header: Depth=1
	s_sleep 1
	global_store_dwordx2 v[0:1], v[7:8], off
	v_mov_b32_e32 v5, s0
	v_mov_b32_e32 v6, s1
	s_waitcnt vmcnt(0)
	global_atomic_cmpswap_x2 v[5:6], v9, v[5:8], s[2:3] offset:24 glc
	s_waitcnt vmcnt(0)
	v_cmp_eq_u64_e32 vcc, v[5:6], v[7:8]
	v_mov_b32_e32 v8, v6
	s_or_b64 s[6:7], vcc, s[6:7]
	v_mov_b32_e32 v7, v5
	s_andn2_b64 exec, exec, s[6:7]
	s_cbranch_execnz .LBB2_437
.LBB2_438:
	s_or_b64 exec, exec, s[8:9]
	s_getpc_b64 s[6:7]
	s_add_u32 s6, s6, .str.9@rel32@lo+4
	s_addc_u32 s7, s7, .str.9@rel32@hi+12
	s_cmp_lg_u64 s[6:7], 0
	s_cselect_b64 s[0:1], -1, 0
	s_cmp_eq_u64 s[6:7], 0
	s_mov_b64 s[6:7], 0
	s_cbranch_scc1 .LBB2_442
; %bb.439:
	v_mov_b32_e32 v0, 0
	s_getpc_b64 s[6:7]
	s_add_u32 s6, s6, .str.9@rel32@lo+3
	s_addc_u32 s7, s7, .str.9@rel32@hi+11
.LBB2_440:                              ; =>This Inner Loop Header: Depth=1
	global_load_ubyte v1, v0, s[6:7] offset:1
	s_add_u32 s8, s6, 1
	s_addc_u32 s9, s7, 0
	s_mov_b64 s[6:7], s[8:9]
	s_waitcnt vmcnt(0)
	v_cmp_ne_u32_e32 vcc, 0, v1
	s_cbranch_vccnz .LBB2_440
; %bb.441:
	s_getpc_b64 s[6:7]
	s_add_u32 s6, s6, .str.9@rel32@lo+4
	s_addc_u32 s7, s7, .str.9@rel32@hi+12
	s_sub_u32 s6, s8, s6
	s_subb_u32 s7, s9, s7
	s_add_u32 s6, s6, 1
	s_addc_u32 s7, s7, 0
.LBB2_442:
	s_and_b64 vcc, exec, s[0:1]
	s_cbranch_vccz .LBB2_528
; %bb.443:
	s_waitcnt vmcnt(0)
	v_and_b32_e32 v34, 2, v3
	v_mov_b32_e32 v1, 0
	v_and_b32_e32 v5, -3, v3
	v_mov_b32_e32 v6, v4
	v_mov_b32_e32 v11, 2
	;; [unrolled: 1-line block ×3, first 2 shown]
	s_getpc_b64 s[8:9]
	s_add_u32 s8, s8, .str.9@rel32@lo+4
	s_addc_u32 s9, s9, .str.9@rel32@hi+12
	s_branch .LBB2_445
.LBB2_444:                              ;   in Loop: Header=BB2_445 Depth=1
	s_or_b64 exec, exec, s[14:15]
	s_sub_u32 s6, s6, s10
	s_subb_u32 s7, s7, s11
	s_add_u32 s8, s8, s10
	s_addc_u32 s9, s9, s11
	s_cmp_lg_u64 s[6:7], 0
	s_cbranch_scc0 .LBB2_527
.LBB2_445:                              ; =>This Loop Header: Depth=1
                                        ;     Child Loop BB2_448 Depth 2
                                        ;     Child Loop BB2_456 Depth 2
	;; [unrolled: 1-line block ×11, first 2 shown]
	v_cmp_lt_u64_e64 s[0:1], s[6:7], 56
	v_cmp_gt_u64_e64 s[12:13], s[6:7], 7
	s_and_b64 s[0:1], s[0:1], exec
	s_cselect_b32 s11, s7, 0
	s_cselect_b32 s10, s6, 56
	s_add_u32 s0, s8, 8
	s_addc_u32 s1, s9, 0
	s_and_b64 vcc, exec, s[12:13]
	s_cbranch_vccnz .LBB2_449
; %bb.446:                              ;   in Loop: Header=BB2_445 Depth=1
	s_cmp_eq_u64 s[6:7], 0
	s_cbranch_scc1 .LBB2_450
; %bb.447:                              ;   in Loop: Header=BB2_445 Depth=1
	v_mov_b32_e32 v7, 0
	s_lshl_b64 s[0:1], s[10:11], 3
	s_mov_b64 s[12:13], 0
	v_mov_b32_e32 v8, 0
	s_mov_b64 s[14:15], s[8:9]
.LBB2_448:                              ;   Parent Loop BB2_445 Depth=1
                                        ; =>  This Inner Loop Header: Depth=2
	global_load_ubyte v0, v1, s[14:15]
	s_waitcnt vmcnt(0)
	v_and_b32_e32 v0, 0xffff, v0
	v_lshlrev_b64 v[9:10], s12, v[0:1]
	s_add_u32 s12, s12, 8
	s_addc_u32 s13, s13, 0
	s_add_u32 s14, s14, 1
	s_addc_u32 s15, s15, 0
	v_or_b32_e32 v7, v9, v7
	s_cmp_lg_u32 s0, s12
	v_or_b32_e32 v8, v10, v8
	s_cbranch_scc1 .LBB2_448
	s_branch .LBB2_451
.LBB2_449:                              ;   in Loop: Header=BB2_445 Depth=1
	s_mov_b32 s16, 0
	s_branch .LBB2_452
.LBB2_450:                              ;   in Loop: Header=BB2_445 Depth=1
	v_mov_b32_e32 v7, 0
	v_mov_b32_e32 v8, 0
.LBB2_451:                              ;   in Loop: Header=BB2_445 Depth=1
	s_mov_b64 s[0:1], s[8:9]
	s_mov_b32 s16, 0
	s_cbranch_execnz .LBB2_453
.LBB2_452:                              ;   in Loop: Header=BB2_445 Depth=1
	global_load_dwordx2 v[7:8], v1, s[8:9]
	s_add_i32 s16, s10, -8
.LBB2_453:                              ;   in Loop: Header=BB2_445 Depth=1
	s_add_u32 s12, s0, 8
	s_addc_u32 s13, s1, 0
	s_cmp_gt_u32 s16, 7
	s_cbranch_scc1 .LBB2_457
; %bb.454:                              ;   in Loop: Header=BB2_445 Depth=1
	s_cmp_eq_u32 s16, 0
	s_cbranch_scc1 .LBB2_458
; %bb.455:                              ;   in Loop: Header=BB2_445 Depth=1
	v_mov_b32_e32 v13, 0
	s_mov_b64 s[12:13], 0
	v_mov_b32_e32 v14, 0
	s_mov_b64 s[14:15], 0
.LBB2_456:                              ;   Parent Loop BB2_445 Depth=1
                                        ; =>  This Inner Loop Header: Depth=2
	s_add_u32 s18, s0, s14
	s_addc_u32 s19, s1, s15
	global_load_ubyte v0, v1, s[18:19]
	s_add_u32 s14, s14, 1
	s_addc_u32 s15, s15, 0
	s_waitcnt vmcnt(0)
	v_and_b32_e32 v0, 0xffff, v0
	v_lshlrev_b64 v[9:10], s12, v[0:1]
	s_add_u32 s12, s12, 8
	s_addc_u32 s13, s13, 0
	v_or_b32_e32 v13, v9, v13
	s_cmp_lg_u32 s16, s14
	v_or_b32_e32 v14, v10, v14
	s_cbranch_scc1 .LBB2_456
	s_branch .LBB2_459
.LBB2_457:                              ;   in Loop: Header=BB2_445 Depth=1
                                        ; implicit-def: $vgpr13_vgpr14
	s_mov_b32 s17, 0
	s_branch .LBB2_460
.LBB2_458:                              ;   in Loop: Header=BB2_445 Depth=1
	v_mov_b32_e32 v13, 0
	v_mov_b32_e32 v14, 0
.LBB2_459:                              ;   in Loop: Header=BB2_445 Depth=1
	s_mov_b64 s[12:13], s[0:1]
	s_mov_b32 s17, 0
	s_cbranch_execnz .LBB2_461
.LBB2_460:                              ;   in Loop: Header=BB2_445 Depth=1
	global_load_dwordx2 v[13:14], v1, s[0:1]
	s_add_i32 s17, s16, -8
.LBB2_461:                              ;   in Loop: Header=BB2_445 Depth=1
	s_add_u32 s0, s12, 8
	s_addc_u32 s1, s13, 0
	s_cmp_gt_u32 s17, 7
	s_cbranch_scc1 .LBB2_465
; %bb.462:                              ;   in Loop: Header=BB2_445 Depth=1
	s_cmp_eq_u32 s17, 0
	s_cbranch_scc1 .LBB2_466
; %bb.463:                              ;   in Loop: Header=BB2_445 Depth=1
	v_mov_b32_e32 v15, 0
	s_mov_b64 s[0:1], 0
	v_mov_b32_e32 v16, 0
	s_mov_b64 s[14:15], 0
.LBB2_464:                              ;   Parent Loop BB2_445 Depth=1
                                        ; =>  This Inner Loop Header: Depth=2
	s_add_u32 s18, s12, s14
	s_addc_u32 s19, s13, s15
	global_load_ubyte v0, v1, s[18:19]
	s_add_u32 s14, s14, 1
	s_addc_u32 s15, s15, 0
	s_waitcnt vmcnt(0)
	v_and_b32_e32 v0, 0xffff, v0
	v_lshlrev_b64 v[9:10], s0, v[0:1]
	s_add_u32 s0, s0, 8
	s_addc_u32 s1, s1, 0
	v_or_b32_e32 v15, v9, v15
	s_cmp_lg_u32 s17, s14
	v_or_b32_e32 v16, v10, v16
	s_cbranch_scc1 .LBB2_464
	s_branch .LBB2_467
.LBB2_465:                              ;   in Loop: Header=BB2_445 Depth=1
	s_mov_b32 s16, 0
	s_branch .LBB2_468
.LBB2_466:                              ;   in Loop: Header=BB2_445 Depth=1
	v_mov_b32_e32 v15, 0
	v_mov_b32_e32 v16, 0
.LBB2_467:                              ;   in Loop: Header=BB2_445 Depth=1
	s_mov_b64 s[0:1], s[12:13]
	s_mov_b32 s16, 0
	s_cbranch_execnz .LBB2_469
.LBB2_468:                              ;   in Loop: Header=BB2_445 Depth=1
	global_load_dwordx2 v[15:16], v1, s[12:13]
	s_add_i32 s16, s17, -8
.LBB2_469:                              ;   in Loop: Header=BB2_445 Depth=1
	s_add_u32 s12, s0, 8
	s_addc_u32 s13, s1, 0
	s_cmp_gt_u32 s16, 7
	s_cbranch_scc1 .LBB2_473
; %bb.470:                              ;   in Loop: Header=BB2_445 Depth=1
	s_cmp_eq_u32 s16, 0
	s_cbranch_scc1 .LBB2_474
; %bb.471:                              ;   in Loop: Header=BB2_445 Depth=1
	v_mov_b32_e32 v17, 0
	s_mov_b64 s[12:13], 0
	v_mov_b32_e32 v18, 0
	s_mov_b64 s[14:15], 0
.LBB2_472:                              ;   Parent Loop BB2_445 Depth=1
                                        ; =>  This Inner Loop Header: Depth=2
	s_add_u32 s18, s0, s14
	s_addc_u32 s19, s1, s15
	global_load_ubyte v0, v1, s[18:19]
	s_add_u32 s14, s14, 1
	s_addc_u32 s15, s15, 0
	s_waitcnt vmcnt(0)
	v_and_b32_e32 v0, 0xffff, v0
	v_lshlrev_b64 v[9:10], s12, v[0:1]
	s_add_u32 s12, s12, 8
	s_addc_u32 s13, s13, 0
	v_or_b32_e32 v17, v9, v17
	s_cmp_lg_u32 s16, s14
	v_or_b32_e32 v18, v10, v18
	s_cbranch_scc1 .LBB2_472
	s_branch .LBB2_475
.LBB2_473:                              ;   in Loop: Header=BB2_445 Depth=1
                                        ; implicit-def: $vgpr17_vgpr18
	s_mov_b32 s17, 0
	s_branch .LBB2_476
.LBB2_474:                              ;   in Loop: Header=BB2_445 Depth=1
	v_mov_b32_e32 v17, 0
	v_mov_b32_e32 v18, 0
.LBB2_475:                              ;   in Loop: Header=BB2_445 Depth=1
	s_mov_b64 s[12:13], s[0:1]
	s_mov_b32 s17, 0
	s_cbranch_execnz .LBB2_477
.LBB2_476:                              ;   in Loop: Header=BB2_445 Depth=1
	global_load_dwordx2 v[17:18], v1, s[0:1]
	s_add_i32 s17, s16, -8
.LBB2_477:                              ;   in Loop: Header=BB2_445 Depth=1
	s_add_u32 s0, s12, 8
	s_addc_u32 s1, s13, 0
	s_cmp_gt_u32 s17, 7
	s_cbranch_scc1 .LBB2_481
; %bb.478:                              ;   in Loop: Header=BB2_445 Depth=1
	s_cmp_eq_u32 s17, 0
	s_cbranch_scc1 .LBB2_482
; %bb.479:                              ;   in Loop: Header=BB2_445 Depth=1
	v_mov_b32_e32 v19, 0
	s_mov_b64 s[0:1], 0
	v_mov_b32_e32 v20, 0
	s_mov_b64 s[14:15], 0
.LBB2_480:                              ;   Parent Loop BB2_445 Depth=1
                                        ; =>  This Inner Loop Header: Depth=2
	s_add_u32 s18, s12, s14
	s_addc_u32 s19, s13, s15
	global_load_ubyte v0, v1, s[18:19]
	s_add_u32 s14, s14, 1
	s_addc_u32 s15, s15, 0
	s_waitcnt vmcnt(0)
	v_and_b32_e32 v0, 0xffff, v0
	v_lshlrev_b64 v[9:10], s0, v[0:1]
	s_add_u32 s0, s0, 8
	s_addc_u32 s1, s1, 0
	v_or_b32_e32 v19, v9, v19
	s_cmp_lg_u32 s17, s14
	v_or_b32_e32 v20, v10, v20
	s_cbranch_scc1 .LBB2_480
	s_branch .LBB2_483
.LBB2_481:                              ;   in Loop: Header=BB2_445 Depth=1
	s_mov_b32 s16, 0
	s_branch .LBB2_484
.LBB2_482:                              ;   in Loop: Header=BB2_445 Depth=1
	v_mov_b32_e32 v19, 0
	v_mov_b32_e32 v20, 0
.LBB2_483:                              ;   in Loop: Header=BB2_445 Depth=1
	s_mov_b64 s[0:1], s[12:13]
	s_mov_b32 s16, 0
	s_cbranch_execnz .LBB2_485
.LBB2_484:                              ;   in Loop: Header=BB2_445 Depth=1
	global_load_dwordx2 v[19:20], v1, s[12:13]
	s_add_i32 s16, s17, -8
.LBB2_485:                              ;   in Loop: Header=BB2_445 Depth=1
	s_add_u32 s12, s0, 8
	s_addc_u32 s13, s1, 0
	s_cmp_gt_u32 s16, 7
	s_cbranch_scc1 .LBB2_489
; %bb.486:                              ;   in Loop: Header=BB2_445 Depth=1
	s_cmp_eq_u32 s16, 0
	s_cbranch_scc1 .LBB2_490
; %bb.487:                              ;   in Loop: Header=BB2_445 Depth=1
	v_mov_b32_e32 v21, 0
	s_mov_b64 s[12:13], 0
	v_mov_b32_e32 v22, 0
	s_mov_b64 s[14:15], 0
.LBB2_488:                              ;   Parent Loop BB2_445 Depth=1
                                        ; =>  This Inner Loop Header: Depth=2
	s_add_u32 s18, s0, s14
	s_addc_u32 s19, s1, s15
	global_load_ubyte v0, v1, s[18:19]
	s_add_u32 s14, s14, 1
	s_addc_u32 s15, s15, 0
	s_waitcnt vmcnt(0)
	v_and_b32_e32 v0, 0xffff, v0
	v_lshlrev_b64 v[9:10], s12, v[0:1]
	s_add_u32 s12, s12, 8
	s_addc_u32 s13, s13, 0
	v_or_b32_e32 v21, v9, v21
	s_cmp_lg_u32 s16, s14
	v_or_b32_e32 v22, v10, v22
	s_cbranch_scc1 .LBB2_488
	s_branch .LBB2_491
.LBB2_489:                              ;   in Loop: Header=BB2_445 Depth=1
                                        ; implicit-def: $vgpr21_vgpr22
	s_mov_b32 s17, 0
	s_branch .LBB2_492
.LBB2_490:                              ;   in Loop: Header=BB2_445 Depth=1
	v_mov_b32_e32 v21, 0
	v_mov_b32_e32 v22, 0
.LBB2_491:                              ;   in Loop: Header=BB2_445 Depth=1
	s_mov_b64 s[12:13], s[0:1]
	s_mov_b32 s17, 0
	s_cbranch_execnz .LBB2_493
.LBB2_492:                              ;   in Loop: Header=BB2_445 Depth=1
	global_load_dwordx2 v[21:22], v1, s[0:1]
	s_add_i32 s17, s16, -8
.LBB2_493:                              ;   in Loop: Header=BB2_445 Depth=1
	s_cmp_gt_u32 s17, 7
	s_cbranch_scc1 .LBB2_497
; %bb.494:                              ;   in Loop: Header=BB2_445 Depth=1
	s_cmp_eq_u32 s17, 0
	s_cbranch_scc1 .LBB2_498
; %bb.495:                              ;   in Loop: Header=BB2_445 Depth=1
	v_mov_b32_e32 v23, 0
	s_mov_b64 s[0:1], 0
	v_mov_b32_e32 v24, 0
	s_mov_b64 s[14:15], s[12:13]
.LBB2_496:                              ;   Parent Loop BB2_445 Depth=1
                                        ; =>  This Inner Loop Header: Depth=2
	global_load_ubyte v0, v1, s[14:15]
	s_add_i32 s17, s17, -1
	s_waitcnt vmcnt(0)
	v_and_b32_e32 v0, 0xffff, v0
	v_lshlrev_b64 v[9:10], s0, v[0:1]
	s_add_u32 s0, s0, 8
	s_addc_u32 s1, s1, 0
	s_add_u32 s14, s14, 1
	s_addc_u32 s15, s15, 0
	v_or_b32_e32 v23, v9, v23
	s_cmp_lg_u32 s17, 0
	v_or_b32_e32 v24, v10, v24
	s_cbranch_scc1 .LBB2_496
	s_branch .LBB2_499
.LBB2_497:                              ;   in Loop: Header=BB2_445 Depth=1
	s_branch .LBB2_500
.LBB2_498:                              ;   in Loop: Header=BB2_445 Depth=1
	v_mov_b32_e32 v23, 0
	v_mov_b32_e32 v24, 0
.LBB2_499:                              ;   in Loop: Header=BB2_445 Depth=1
	s_cbranch_execnz .LBB2_501
.LBB2_500:                              ;   in Loop: Header=BB2_445 Depth=1
	global_load_dwordx2 v[23:24], v1, s[12:13]
.LBB2_501:                              ;   in Loop: Header=BB2_445 Depth=1
	v_readfirstlane_b32 s0, v33
	v_mov_b32_e32 v9, 0
	v_mov_b32_e32 v10, 0
	v_cmp_eq_u32_e64 s[0:1], s0, v33
	s_and_saveexec_b64 s[12:13], s[0:1]
	s_cbranch_execz .LBB2_507
; %bb.502:                              ;   in Loop: Header=BB2_445 Depth=1
	global_load_dwordx2 v[27:28], v1, s[2:3] offset:24 glc
	s_waitcnt vmcnt(0)
	buffer_wbinvl1_vol
	global_load_dwordx2 v[9:10], v1, s[2:3] offset:40
	global_load_dwordx2 v[25:26], v1, s[2:3]
	s_waitcnt vmcnt(1)
	v_and_b32_e32 v0, v9, v27
	v_and_b32_e32 v9, v10, v28
	v_mul_lo_u32 v9, v9, 24
	v_mul_hi_u32 v10, v0, 24
	v_mul_lo_u32 v0, v0, 24
	v_add_u32_e32 v10, v10, v9
	s_waitcnt vmcnt(0)
	v_add_co_u32_e32 v9, vcc, v25, v0
	v_addc_co_u32_e32 v10, vcc, v26, v10, vcc
	global_load_dwordx2 v[25:26], v[9:10], off glc
	s_waitcnt vmcnt(0)
	global_atomic_cmpswap_x2 v[9:10], v1, v[25:28], s[2:3] offset:24 glc
	s_waitcnt vmcnt(0)
	buffer_wbinvl1_vol
	v_cmp_ne_u64_e32 vcc, v[9:10], v[27:28]
	s_and_saveexec_b64 s[14:15], vcc
	s_cbranch_execz .LBB2_506
; %bb.503:                              ;   in Loop: Header=BB2_445 Depth=1
	s_mov_b64 s[16:17], 0
.LBB2_504:                              ;   Parent Loop BB2_445 Depth=1
                                        ; =>  This Inner Loop Header: Depth=2
	s_sleep 1
	global_load_dwordx2 v[25:26], v1, s[2:3] offset:40
	global_load_dwordx2 v[30:31], v1, s[2:3]
	v_mov_b32_e32 v28, v10
	v_mov_b32_e32 v27, v9
	s_waitcnt vmcnt(1)
	v_and_b32_e32 v0, v25, v27
	s_waitcnt vmcnt(0)
	v_mad_u64_u32 v[9:10], s[18:19], v0, 24, v[30:31]
	v_and_b32_e32 v25, v26, v28
	v_mov_b32_e32 v0, v10
	v_mad_u64_u32 v[25:26], s[18:19], v25, 24, v[0:1]
	v_mov_b32_e32 v10, v25
	global_load_dwordx2 v[25:26], v[9:10], off glc
	s_waitcnt vmcnt(0)
	global_atomic_cmpswap_x2 v[9:10], v1, v[25:28], s[2:3] offset:24 glc
	s_waitcnt vmcnt(0)
	buffer_wbinvl1_vol
	v_cmp_eq_u64_e32 vcc, v[9:10], v[27:28]
	s_or_b64 s[16:17], vcc, s[16:17]
	s_andn2_b64 exec, exec, s[16:17]
	s_cbranch_execnz .LBB2_504
; %bb.505:                              ;   in Loop: Header=BB2_445 Depth=1
	s_or_b64 exec, exec, s[16:17]
.LBB2_506:                              ;   in Loop: Header=BB2_445 Depth=1
	s_or_b64 exec, exec, s[14:15]
.LBB2_507:                              ;   in Loop: Header=BB2_445 Depth=1
	s_or_b64 exec, exec, s[12:13]
	global_load_dwordx2 v[30:31], v1, s[2:3] offset:40
	global_load_dwordx4 v[25:28], v1, s[2:3]
	v_readfirstlane_b32 s13, v10
	v_readfirstlane_b32 s12, v9
	s_mov_b64 s[14:15], exec
	s_waitcnt vmcnt(1)
	v_readfirstlane_b32 s16, v30
	v_readfirstlane_b32 s17, v31
	s_and_b64 s[16:17], s[16:17], s[12:13]
	s_mul_i32 s18, s17, 24
	s_mul_hi_u32 s19, s16, 24
	s_mul_i32 s20, s16, 24
	s_add_i32 s18, s19, s18
	v_mov_b32_e32 v0, s18
	s_waitcnt vmcnt(0)
	v_add_co_u32_e32 v30, vcc, s20, v25
	v_addc_co_u32_e32 v31, vcc, v26, v0, vcc
	s_and_saveexec_b64 s[18:19], s[0:1]
	s_cbranch_execz .LBB2_509
; %bb.508:                              ;   in Loop: Header=BB2_445 Depth=1
	v_mov_b32_e32 v9, s14
	v_mov_b32_e32 v10, s15
	global_store_dwordx4 v[30:31], v[9:12], off offset:8
.LBB2_509:                              ;   in Loop: Header=BB2_445 Depth=1
	s_or_b64 exec, exec, s[18:19]
	s_lshl_b64 s[14:15], s[16:17], 12
	v_mov_b32_e32 v0, s15
	v_add_co_u32_e32 v27, vcc, s14, v27
	v_addc_co_u32_e32 v28, vcc, v28, v0, vcc
	v_cmp_lt_u64_e64 vcc, s[6:7], 57
	s_lshl_b32 s14, s10, 2
	v_cndmask_b32_e32 v0, 0, v34, vcc
	s_add_i32 s14, s14, 28
	v_and_b32_e32 v5, 0xffffff1f, v5
	s_and_b32 s14, s14, 0x1e0
	v_or_b32_e32 v0, v5, v0
	v_or_b32_e32 v5, s14, v0
	v_readfirstlane_b32 s14, v27
	v_readfirstlane_b32 s15, v28
	s_nop 4
	global_store_dwordx4 v32, v[5:8], s[14:15]
	global_store_dwordx4 v32, v[13:16], s[14:15] offset:16
	global_store_dwordx4 v32, v[17:20], s[14:15] offset:32
	;; [unrolled: 1-line block ×3, first 2 shown]
	s_and_saveexec_b64 s[14:15], s[0:1]
	s_cbranch_execz .LBB2_517
; %bb.510:                              ;   in Loop: Header=BB2_445 Depth=1
	global_load_dwordx2 v[15:16], v1, s[2:3] offset:32 glc
	global_load_dwordx2 v[5:6], v1, s[2:3] offset:40
	v_mov_b32_e32 v13, s12
	v_mov_b32_e32 v14, s13
	s_waitcnt vmcnt(0)
	v_readfirstlane_b32 s16, v5
	v_readfirstlane_b32 s17, v6
	s_and_b64 s[16:17], s[16:17], s[12:13]
	s_mul_i32 s17, s17, 24
	s_mul_hi_u32 s18, s16, 24
	s_mul_i32 s16, s16, 24
	s_add_i32 s17, s18, s17
	v_mov_b32_e32 v0, s17
	v_add_co_u32_e32 v9, vcc, s16, v25
	v_addc_co_u32_e32 v10, vcc, v26, v0, vcc
	global_store_dwordx2 v[9:10], v[15:16], off
	s_waitcnt vmcnt(0)
	global_atomic_cmpswap_x2 v[7:8], v1, v[13:16], s[2:3] offset:32 glc
	s_waitcnt vmcnt(0)
	v_cmp_ne_u64_e32 vcc, v[7:8], v[15:16]
	s_and_saveexec_b64 s[16:17], vcc
	s_cbranch_execz .LBB2_513
; %bb.511:                              ;   in Loop: Header=BB2_445 Depth=1
	s_mov_b64 s[18:19], 0
.LBB2_512:                              ;   Parent Loop BB2_445 Depth=1
                                        ; =>  This Inner Loop Header: Depth=2
	s_sleep 1
	global_store_dwordx2 v[9:10], v[7:8], off
	v_mov_b32_e32 v5, s12
	v_mov_b32_e32 v6, s13
	s_waitcnt vmcnt(0)
	global_atomic_cmpswap_x2 v[5:6], v1, v[5:8], s[2:3] offset:32 glc
	s_waitcnt vmcnt(0)
	v_cmp_eq_u64_e32 vcc, v[5:6], v[7:8]
	v_mov_b32_e32 v8, v6
	s_or_b64 s[18:19], vcc, s[18:19]
	v_mov_b32_e32 v7, v5
	s_andn2_b64 exec, exec, s[18:19]
	s_cbranch_execnz .LBB2_512
.LBB2_513:                              ;   in Loop: Header=BB2_445 Depth=1
	s_or_b64 exec, exec, s[16:17]
	global_load_dwordx2 v[5:6], v1, s[2:3] offset:16
	s_mov_b64 s[18:19], exec
	v_mbcnt_lo_u32_b32 v0, s18, 0
	v_mbcnt_hi_u32_b32 v0, s19, v0
	v_cmp_eq_u32_e32 vcc, 0, v0
	s_and_saveexec_b64 s[16:17], vcc
	s_cbranch_execz .LBB2_515
; %bb.514:                              ;   in Loop: Header=BB2_445 Depth=1
	s_bcnt1_i32_b64 s18, s[18:19]
	v_mov_b32_e32 v0, s18
	s_waitcnt vmcnt(0)
	global_atomic_add_x2 v[5:6], v[0:1], off offset:8
.LBB2_515:                              ;   in Loop: Header=BB2_445 Depth=1
	s_or_b64 exec, exec, s[16:17]
	s_waitcnt vmcnt(0)
	global_load_dwordx2 v[7:8], v[5:6], off offset:16
	s_waitcnt vmcnt(0)
	v_cmp_eq_u64_e32 vcc, 0, v[7:8]
	s_cbranch_vccnz .LBB2_517
; %bb.516:                              ;   in Loop: Header=BB2_445 Depth=1
	global_load_dword v0, v[5:6], off offset:24
	s_waitcnt vmcnt(0)
	v_readfirstlane_b32 s16, v0
	s_and_b32 m0, s16, 0xffffff
	global_store_dwordx2 v[7:8], v[0:1], off
	s_sendmsg sendmsg(MSG_INTERRUPT)
.LBB2_517:                              ;   in Loop: Header=BB2_445 Depth=1
	s_or_b64 exec, exec, s[14:15]
	v_add_co_u32_e32 v5, vcc, v27, v32
	v_addc_co_u32_e32 v6, vcc, 0, v28, vcc
	s_branch .LBB2_521
.LBB2_518:                              ;   in Loop: Header=BB2_521 Depth=2
	s_or_b64 exec, exec, s[14:15]
	v_readfirstlane_b32 s14, v0
	s_cmp_eq_u32 s14, 0
	s_cbranch_scc1 .LBB2_520
; %bb.519:                              ;   in Loop: Header=BB2_521 Depth=2
	s_sleep 1
	s_cbranch_execnz .LBB2_521
	s_branch .LBB2_523
.LBB2_520:                              ;   in Loop: Header=BB2_445 Depth=1
	s_branch .LBB2_523
.LBB2_521:                              ;   Parent Loop BB2_445 Depth=1
                                        ; =>  This Inner Loop Header: Depth=2
	v_mov_b32_e32 v0, 1
	s_and_saveexec_b64 s[14:15], s[0:1]
	s_cbranch_execz .LBB2_518
; %bb.522:                              ;   in Loop: Header=BB2_521 Depth=2
	global_load_dword v0, v[30:31], off offset:20 glc
	s_waitcnt vmcnt(0)
	buffer_wbinvl1_vol
	v_and_b32_e32 v0, 1, v0
	s_branch .LBB2_518
.LBB2_523:                              ;   in Loop: Header=BB2_445 Depth=1
	global_load_dwordx2 v[5:6], v[5:6], off
	s_and_saveexec_b64 s[14:15], s[0:1]
	s_cbranch_execz .LBB2_444
; %bb.524:                              ;   in Loop: Header=BB2_445 Depth=1
	global_load_dwordx2 v[7:8], v1, s[2:3] offset:40
	global_load_dwordx2 v[17:18], v1, s[2:3] offset:24 glc
	global_load_dwordx2 v[9:10], v1, s[2:3]
	s_waitcnt vmcnt(2)
	v_readfirstlane_b32 s16, v7
	v_readfirstlane_b32 s17, v8
	s_add_u32 s18, s16, 1
	s_addc_u32 s19, s17, 0
	s_add_u32 s0, s18, s12
	s_addc_u32 s1, s19, s13
	s_cmp_eq_u64 s[0:1], 0
	s_cselect_b32 s1, s19, s1
	s_cselect_b32 s0, s18, s0
	s_and_b64 s[12:13], s[0:1], s[16:17]
	s_mul_i32 s13, s13, 24
	s_mul_hi_u32 s16, s12, 24
	s_mul_i32 s12, s12, 24
	s_add_i32 s13, s16, s13
	v_mov_b32_e32 v0, s13
	s_waitcnt vmcnt(0)
	v_add_co_u32_e32 v13, vcc, s12, v9
	v_addc_co_u32_e32 v14, vcc, v10, v0, vcc
	v_mov_b32_e32 v15, s0
	global_store_dwordx2 v[13:14], v[17:18], off
	v_mov_b32_e32 v16, s1
	s_waitcnt vmcnt(0)
	global_atomic_cmpswap_x2 v[9:10], v1, v[15:18], s[2:3] offset:24 glc
	s_waitcnt vmcnt(0)
	v_cmp_ne_u64_e32 vcc, v[9:10], v[17:18]
	s_and_b64 exec, exec, vcc
	s_cbranch_execz .LBB2_444
; %bb.525:                              ;   in Loop: Header=BB2_445 Depth=1
	s_mov_b64 s[12:13], 0
.LBB2_526:                              ;   Parent Loop BB2_445 Depth=1
                                        ; =>  This Inner Loop Header: Depth=2
	s_sleep 1
	global_store_dwordx2 v[13:14], v[9:10], off
	v_mov_b32_e32 v7, s0
	v_mov_b32_e32 v8, s1
	s_waitcnt vmcnt(0)
	global_atomic_cmpswap_x2 v[7:8], v1, v[7:10], s[2:3] offset:24 glc
	s_waitcnt vmcnt(0)
	v_cmp_eq_u64_e32 vcc, v[7:8], v[9:10]
	v_mov_b32_e32 v10, v8
	s_or_b64 s[12:13], vcc, s[12:13]
	v_mov_b32_e32 v9, v7
	s_andn2_b64 exec, exec, s[12:13]
	s_cbranch_execnz .LBB2_526
	s_branch .LBB2_444
.LBB2_527:
	s_branch .LBB2_555
.LBB2_528:
                                        ; implicit-def: $vgpr5_vgpr6
	s_cbranch_execz .LBB2_555
; %bb.529:
	v_readfirstlane_b32 s0, v33
	v_mov_b32_e32 v0, 0
	v_mov_b32_e32 v1, 0
	v_cmp_eq_u32_e64 s[0:1], s0, v33
	s_and_saveexec_b64 s[6:7], s[0:1]
	s_cbranch_execz .LBB2_535
; %bb.530:
	s_waitcnt vmcnt(0)
	v_mov_b32_e32 v5, 0
	global_load_dwordx2 v[8:9], v5, s[2:3] offset:24 glc
	s_waitcnt vmcnt(0)
	buffer_wbinvl1_vol
	global_load_dwordx2 v[0:1], v5, s[2:3] offset:40
	global_load_dwordx2 v[6:7], v5, s[2:3]
	s_waitcnt vmcnt(1)
	v_and_b32_e32 v0, v0, v8
	v_and_b32_e32 v1, v1, v9
	v_mul_lo_u32 v1, v1, 24
	v_mul_hi_u32 v10, v0, 24
	v_mul_lo_u32 v0, v0, 24
	v_add_u32_e32 v1, v10, v1
	s_waitcnt vmcnt(0)
	v_add_co_u32_e32 v0, vcc, v6, v0
	v_addc_co_u32_e32 v1, vcc, v7, v1, vcc
	global_load_dwordx2 v[6:7], v[0:1], off glc
	s_waitcnt vmcnt(0)
	global_atomic_cmpswap_x2 v[0:1], v5, v[6:9], s[2:3] offset:24 glc
	s_waitcnt vmcnt(0)
	buffer_wbinvl1_vol
	v_cmp_ne_u64_e32 vcc, v[0:1], v[8:9]
	s_and_saveexec_b64 s[8:9], vcc
	s_cbranch_execz .LBB2_534
; %bb.531:
	s_mov_b64 s[10:11], 0
.LBB2_532:                              ; =>This Inner Loop Header: Depth=1
	s_sleep 1
	global_load_dwordx2 v[6:7], v5, s[2:3] offset:40
	global_load_dwordx2 v[10:11], v5, s[2:3]
	v_mov_b32_e32 v9, v1
	v_mov_b32_e32 v8, v0
	s_waitcnt vmcnt(1)
	v_and_b32_e32 v0, v6, v8
	s_waitcnt vmcnt(0)
	v_mad_u64_u32 v[0:1], s[12:13], v0, 24, v[10:11]
	v_and_b32_e32 v6, v7, v9
	v_mad_u64_u32 v[6:7], s[12:13], v6, 24, v[1:2]
	v_mov_b32_e32 v1, v6
	global_load_dwordx2 v[6:7], v[0:1], off glc
	s_waitcnt vmcnt(0)
	global_atomic_cmpswap_x2 v[0:1], v5, v[6:9], s[2:3] offset:24 glc
	s_waitcnt vmcnt(0)
	buffer_wbinvl1_vol
	v_cmp_eq_u64_e32 vcc, v[0:1], v[8:9]
	s_or_b64 s[10:11], vcc, s[10:11]
	s_andn2_b64 exec, exec, s[10:11]
	s_cbranch_execnz .LBB2_532
; %bb.533:
	s_or_b64 exec, exec, s[10:11]
.LBB2_534:
	s_or_b64 exec, exec, s[8:9]
.LBB2_535:
	s_or_b64 exec, exec, s[6:7]
	s_waitcnt vmcnt(0)
	v_mov_b32_e32 v5, 0
	global_load_dwordx2 v[11:12], v5, s[2:3] offset:40
	global_load_dwordx4 v[7:10], v5, s[2:3]
	v_readfirstlane_b32 s7, v1
	v_readfirstlane_b32 s6, v0
	s_mov_b64 s[8:9], exec
	s_waitcnt vmcnt(1)
	v_readfirstlane_b32 s10, v11
	v_readfirstlane_b32 s11, v12
	s_and_b64 s[10:11], s[10:11], s[6:7]
	s_mul_i32 s12, s11, 24
	s_mul_hi_u32 s13, s10, 24
	s_mul_i32 s14, s10, 24
	s_add_i32 s12, s13, s12
	v_mov_b32_e32 v1, s12
	s_waitcnt vmcnt(0)
	v_add_co_u32_e32 v0, vcc, s14, v7
	v_addc_co_u32_e32 v1, vcc, v8, v1, vcc
	s_and_saveexec_b64 s[12:13], s[0:1]
	s_cbranch_execz .LBB2_537
; %bb.536:
	v_mov_b32_e32 v12, s9
	v_mov_b32_e32 v11, s8
	;; [unrolled: 1-line block ×4, first 2 shown]
	global_store_dwordx4 v[0:1], v[11:14], off offset:8
.LBB2_537:
	s_or_b64 exec, exec, s[12:13]
	s_lshl_b64 s[8:9], s[10:11], 12
	v_mov_b32_e32 v6, s9
	v_add_co_u32_e32 v11, vcc, s8, v9
	v_addc_co_u32_e32 v12, vcc, v10, v6, vcc
	s_movk_i32 s8, 0xff1f
	v_and_or_b32 v3, v3, s8, 32
	s_mov_b32 s8, 0
	v_mov_b32_e32 v6, v5
	v_readfirstlane_b32 s12, v11
	v_readfirstlane_b32 s13, v12
	v_add_co_u32_e32 v9, vcc, v11, v32
	s_mov_b32 s9, s8
	s_mov_b32 s10, s8
	;; [unrolled: 1-line block ×3, first 2 shown]
	s_nop 0
	global_store_dwordx4 v32, v[3:6], s[12:13]
	v_addc_co_u32_e32 v10, vcc, 0, v12, vcc
	v_mov_b32_e32 v3, s8
	v_mov_b32_e32 v4, s9
	;; [unrolled: 1-line block ×4, first 2 shown]
	global_store_dwordx4 v32, v[3:6], s[12:13] offset:16
	global_store_dwordx4 v32, v[3:6], s[12:13] offset:32
	;; [unrolled: 1-line block ×3, first 2 shown]
	s_and_saveexec_b64 s[8:9], s[0:1]
	s_cbranch_execz .LBB2_545
; %bb.538:
	v_mov_b32_e32 v11, 0
	global_load_dwordx2 v[14:15], v11, s[2:3] offset:32 glc
	global_load_dwordx2 v[3:4], v11, s[2:3] offset:40
	v_mov_b32_e32 v12, s6
	v_mov_b32_e32 v13, s7
	s_waitcnt vmcnt(0)
	v_readfirstlane_b32 s10, v3
	v_readfirstlane_b32 s11, v4
	s_and_b64 s[10:11], s[10:11], s[6:7]
	s_mul_i32 s11, s11, 24
	s_mul_hi_u32 s12, s10, 24
	s_mul_i32 s10, s10, 24
	s_add_i32 s11, s12, s11
	v_mov_b32_e32 v3, s11
	v_add_co_u32_e32 v7, vcc, s10, v7
	v_addc_co_u32_e32 v8, vcc, v8, v3, vcc
	global_store_dwordx2 v[7:8], v[14:15], off
	s_waitcnt vmcnt(0)
	global_atomic_cmpswap_x2 v[5:6], v11, v[12:15], s[2:3] offset:32 glc
	s_waitcnt vmcnt(0)
	v_cmp_ne_u64_e32 vcc, v[5:6], v[14:15]
	s_and_saveexec_b64 s[10:11], vcc
	s_cbranch_execz .LBB2_541
; %bb.539:
	s_mov_b64 s[12:13], 0
.LBB2_540:                              ; =>This Inner Loop Header: Depth=1
	s_sleep 1
	global_store_dwordx2 v[7:8], v[5:6], off
	v_mov_b32_e32 v3, s6
	v_mov_b32_e32 v4, s7
	s_waitcnt vmcnt(0)
	global_atomic_cmpswap_x2 v[3:4], v11, v[3:6], s[2:3] offset:32 glc
	s_waitcnt vmcnt(0)
	v_cmp_eq_u64_e32 vcc, v[3:4], v[5:6]
	v_mov_b32_e32 v6, v4
	s_or_b64 s[12:13], vcc, s[12:13]
	v_mov_b32_e32 v5, v3
	s_andn2_b64 exec, exec, s[12:13]
	s_cbranch_execnz .LBB2_540
.LBB2_541:
	s_or_b64 exec, exec, s[10:11]
	v_mov_b32_e32 v6, 0
	global_load_dwordx2 v[3:4], v6, s[2:3] offset:16
	s_mov_b64 s[10:11], exec
	v_mbcnt_lo_u32_b32 v5, s10, 0
	v_mbcnt_hi_u32_b32 v5, s11, v5
	v_cmp_eq_u32_e32 vcc, 0, v5
	s_and_saveexec_b64 s[12:13], vcc
	s_cbranch_execz .LBB2_543
; %bb.542:
	s_bcnt1_i32_b64 s10, s[10:11]
	v_mov_b32_e32 v5, s10
	s_waitcnt vmcnt(0)
	global_atomic_add_x2 v[3:4], v[5:6], off offset:8
.LBB2_543:
	s_or_b64 exec, exec, s[12:13]
	s_waitcnt vmcnt(0)
	global_load_dwordx2 v[5:6], v[3:4], off offset:16
	s_waitcnt vmcnt(0)
	v_cmp_eq_u64_e32 vcc, 0, v[5:6]
	s_cbranch_vccnz .LBB2_545
; %bb.544:
	global_load_dword v3, v[3:4], off offset:24
	v_mov_b32_e32 v4, 0
	s_waitcnt vmcnt(0)
	v_readfirstlane_b32 s10, v3
	s_and_b32 m0, s10, 0xffffff
	global_store_dwordx2 v[5:6], v[3:4], off
	s_sendmsg sendmsg(MSG_INTERRUPT)
.LBB2_545:
	s_or_b64 exec, exec, s[8:9]
	s_branch .LBB2_549
.LBB2_546:                              ;   in Loop: Header=BB2_549 Depth=1
	s_or_b64 exec, exec, s[8:9]
	v_readfirstlane_b32 s8, v3
	s_cmp_eq_u32 s8, 0
	s_cbranch_scc1 .LBB2_548
; %bb.547:                              ;   in Loop: Header=BB2_549 Depth=1
	s_sleep 1
	s_cbranch_execnz .LBB2_549
	s_branch .LBB2_551
.LBB2_548:
	s_branch .LBB2_551
.LBB2_549:                              ; =>This Inner Loop Header: Depth=1
	v_mov_b32_e32 v3, 1
	s_and_saveexec_b64 s[8:9], s[0:1]
	s_cbranch_execz .LBB2_546
; %bb.550:                              ;   in Loop: Header=BB2_549 Depth=1
	global_load_dword v3, v[0:1], off offset:20 glc
	s_waitcnt vmcnt(0)
	buffer_wbinvl1_vol
	v_and_b32_e32 v3, 1, v3
	s_branch .LBB2_546
.LBB2_551:
	global_load_dwordx2 v[5:6], v[9:10], off
	s_and_saveexec_b64 s[8:9], s[0:1]
	s_cbranch_execz .LBB2_554
; %bb.552:
	v_mov_b32_e32 v3, 0
	global_load_dwordx2 v[0:1], v3, s[2:3] offset:40
	global_load_dwordx2 v[11:12], v3, s[2:3] offset:24 glc
	global_load_dwordx2 v[7:8], v3, s[2:3]
	s_waitcnt vmcnt(2)
	v_readfirstlane_b32 s10, v0
	v_readfirstlane_b32 s11, v1
	s_add_u32 s12, s10, 1
	s_addc_u32 s13, s11, 0
	s_add_u32 s0, s12, s6
	s_addc_u32 s1, s13, s7
	s_cmp_eq_u64 s[0:1], 0
	s_cselect_b32 s1, s13, s1
	s_cselect_b32 s0, s12, s0
	s_and_b64 s[6:7], s[0:1], s[10:11]
	s_mul_i32 s7, s7, 24
	s_mul_hi_u32 s10, s6, 24
	s_mul_i32 s6, s6, 24
	s_add_i32 s7, s10, s7
	v_mov_b32_e32 v1, s7
	s_waitcnt vmcnt(0)
	v_add_co_u32_e32 v0, vcc, s6, v7
	v_addc_co_u32_e32 v1, vcc, v8, v1, vcc
	v_mov_b32_e32 v9, s0
	global_store_dwordx2 v[0:1], v[11:12], off
	v_mov_b32_e32 v10, s1
	s_waitcnt vmcnt(0)
	global_atomic_cmpswap_x2 v[9:10], v3, v[9:12], s[2:3] offset:24 glc
	s_mov_b64 s[6:7], 0
	s_waitcnt vmcnt(0)
	v_cmp_ne_u64_e32 vcc, v[9:10], v[11:12]
	s_and_b64 exec, exec, vcc
	s_cbranch_execz .LBB2_554
.LBB2_553:                              ; =>This Inner Loop Header: Depth=1
	s_sleep 1
	global_store_dwordx2 v[0:1], v[9:10], off
	v_mov_b32_e32 v7, s0
	v_mov_b32_e32 v8, s1
	s_waitcnt vmcnt(0)
	global_atomic_cmpswap_x2 v[7:8], v3, v[7:10], s[2:3] offset:24 glc
	s_waitcnt vmcnt(0)
	v_cmp_eq_u64_e32 vcc, v[7:8], v[9:10]
	v_mov_b32_e32 v10, v8
	s_or_b64 s[6:7], vcc, s[6:7]
	v_mov_b32_e32 v9, v7
	s_andn2_b64 exec, exec, s[6:7]
	s_cbranch_execnz .LBB2_553
.LBB2_554:
	s_or_b64 exec, exec, s[8:9]
.LBB2_555:
	v_readfirstlane_b32 s0, v33
	v_mov_b32_e32 v0, 0
	v_mov_b32_e32 v1, 0
	v_cmp_eq_u32_e64 s[0:1], s0, v33
	s_and_saveexec_b64 s[6:7], s[0:1]
	s_cbranch_execz .LBB2_561
; %bb.556:
	s_waitcnt vmcnt(0)
	v_mov_b32_e32 v3, 0
	global_load_dwordx2 v[9:10], v3, s[2:3] offset:24 glc
	s_waitcnt vmcnt(0)
	buffer_wbinvl1_vol
	global_load_dwordx2 v[0:1], v3, s[2:3] offset:40
	global_load_dwordx2 v[7:8], v3, s[2:3]
	s_waitcnt vmcnt(1)
	v_and_b32_e32 v0, v0, v9
	v_and_b32_e32 v1, v1, v10
	v_mul_lo_u32 v1, v1, 24
	v_mul_hi_u32 v4, v0, 24
	v_mul_lo_u32 v0, v0, 24
	v_add_u32_e32 v1, v4, v1
	s_waitcnt vmcnt(0)
	v_add_co_u32_e32 v0, vcc, v7, v0
	v_addc_co_u32_e32 v1, vcc, v8, v1, vcc
	global_load_dwordx2 v[7:8], v[0:1], off glc
	s_waitcnt vmcnt(0)
	global_atomic_cmpswap_x2 v[0:1], v3, v[7:10], s[2:3] offset:24 glc
	s_waitcnt vmcnt(0)
	buffer_wbinvl1_vol
	v_cmp_ne_u64_e32 vcc, v[0:1], v[9:10]
	s_and_saveexec_b64 s[8:9], vcc
	s_cbranch_execz .LBB2_560
; %bb.557:
	s_mov_b64 s[10:11], 0
.LBB2_558:                              ; =>This Inner Loop Header: Depth=1
	s_sleep 1
	global_load_dwordx2 v[7:8], v3, s[2:3] offset:40
	global_load_dwordx2 v[11:12], v3, s[2:3]
	v_mov_b32_e32 v10, v1
	v_mov_b32_e32 v9, v0
	s_waitcnt vmcnt(1)
	v_and_b32_e32 v0, v7, v9
	s_waitcnt vmcnt(0)
	v_mad_u64_u32 v[0:1], s[12:13], v0, 24, v[11:12]
	v_and_b32_e32 v4, v8, v10
	v_mad_u64_u32 v[7:8], s[12:13], v4, 24, v[1:2]
	v_mov_b32_e32 v1, v7
	global_load_dwordx2 v[7:8], v[0:1], off glc
	s_waitcnt vmcnt(0)
	global_atomic_cmpswap_x2 v[0:1], v3, v[7:10], s[2:3] offset:24 glc
	s_waitcnt vmcnt(0)
	buffer_wbinvl1_vol
	v_cmp_eq_u64_e32 vcc, v[0:1], v[9:10]
	s_or_b64 s[10:11], vcc, s[10:11]
	s_andn2_b64 exec, exec, s[10:11]
	s_cbranch_execnz .LBB2_558
; %bb.559:
	s_or_b64 exec, exec, s[10:11]
.LBB2_560:
	s_or_b64 exec, exec, s[8:9]
.LBB2_561:
	s_or_b64 exec, exec, s[6:7]
	v_mov_b32_e32 v8, 0
	global_load_dwordx2 v[3:4], v8, s[2:3] offset:40
	global_load_dwordx4 v[9:12], v8, s[2:3]
	v_readfirstlane_b32 s7, v1
	v_readfirstlane_b32 s6, v0
	s_mov_b64 s[8:9], exec
	s_waitcnt vmcnt(1)
	v_readfirstlane_b32 s10, v3
	v_readfirstlane_b32 s11, v4
	s_and_b64 s[10:11], s[10:11], s[6:7]
	s_mul_i32 s12, s11, 24
	s_mul_hi_u32 s13, s10, 24
	s_mul_i32 s14, s10, 24
	s_add_i32 s12, s13, s12
	v_mov_b32_e32 v1, s12
	s_waitcnt vmcnt(0)
	v_add_co_u32_e32 v0, vcc, s14, v9
	v_addc_co_u32_e32 v1, vcc, v10, v1, vcc
	s_and_saveexec_b64 s[12:13], s[0:1]
	s_cbranch_execz .LBB2_563
; %bb.562:
	v_mov_b32_e32 v14, s9
	v_mov_b32_e32 v13, s8
	;; [unrolled: 1-line block ×4, first 2 shown]
	global_store_dwordx4 v[0:1], v[13:16], off offset:8
.LBB2_563:
	s_or_b64 exec, exec, s[12:13]
	s_lshl_b64 s[8:9], s[10:11], 12
	v_mov_b32_e32 v3, s9
	v_add_co_u32_e32 v4, vcc, s8, v11
	v_addc_co_u32_e32 v3, vcc, v12, v3, vcc
	s_movk_i32 s8, 0xff1f
	v_and_or_b32 v5, v5, s8, 32
	v_add_co_u32_e32 v11, vcc, v4, v32
	s_mov_b32 s8, 0
	v_mov_b32_e32 v7, 1
	v_readfirstlane_b32 s12, v4
	v_readfirstlane_b32 s13, v3
	v_addc_co_u32_e32 v12, vcc, 0, v3, vcc
	s_mov_b32 s9, s8
	s_mov_b32 s10, s8
	s_mov_b32 s11, s8
	s_nop 0
	global_store_dwordx4 v32, v[5:8], s[12:13]
	v_mov_b32_e32 v3, s8
	v_mov_b32_e32 v4, s9
	v_mov_b32_e32 v5, s10
	v_mov_b32_e32 v6, s11
	global_store_dwordx4 v32, v[3:6], s[12:13] offset:16
	global_store_dwordx4 v32, v[3:6], s[12:13] offset:32
	;; [unrolled: 1-line block ×3, first 2 shown]
	s_and_saveexec_b64 s[8:9], s[0:1]
	s_cbranch_execz .LBB2_571
; %bb.564:
	v_mov_b32_e32 v13, 0
	global_load_dwordx2 v[16:17], v13, s[2:3] offset:32 glc
	global_load_dwordx2 v[3:4], v13, s[2:3] offset:40
	v_mov_b32_e32 v14, s6
	v_mov_b32_e32 v15, s7
	s_waitcnt vmcnt(0)
	v_readfirstlane_b32 s10, v3
	v_readfirstlane_b32 s11, v4
	s_and_b64 s[10:11], s[10:11], s[6:7]
	s_mul_i32 s11, s11, 24
	s_mul_hi_u32 s12, s10, 24
	s_mul_i32 s10, s10, 24
	s_add_i32 s11, s12, s11
	v_mov_b32_e32 v3, s11
	v_add_co_u32_e32 v7, vcc, s10, v9
	v_addc_co_u32_e32 v8, vcc, v10, v3, vcc
	global_store_dwordx2 v[7:8], v[16:17], off
	s_waitcnt vmcnt(0)
	global_atomic_cmpswap_x2 v[5:6], v13, v[14:17], s[2:3] offset:32 glc
	s_waitcnt vmcnt(0)
	v_cmp_ne_u64_e32 vcc, v[5:6], v[16:17]
	s_and_saveexec_b64 s[10:11], vcc
	s_cbranch_execz .LBB2_567
; %bb.565:
	s_mov_b64 s[12:13], 0
.LBB2_566:                              ; =>This Inner Loop Header: Depth=1
	s_sleep 1
	global_store_dwordx2 v[7:8], v[5:6], off
	v_mov_b32_e32 v3, s6
	v_mov_b32_e32 v4, s7
	s_waitcnt vmcnt(0)
	global_atomic_cmpswap_x2 v[3:4], v13, v[3:6], s[2:3] offset:32 glc
	s_waitcnt vmcnt(0)
	v_cmp_eq_u64_e32 vcc, v[3:4], v[5:6]
	v_mov_b32_e32 v6, v4
	s_or_b64 s[12:13], vcc, s[12:13]
	v_mov_b32_e32 v5, v3
	s_andn2_b64 exec, exec, s[12:13]
	s_cbranch_execnz .LBB2_566
.LBB2_567:
	s_or_b64 exec, exec, s[10:11]
	v_mov_b32_e32 v6, 0
	global_load_dwordx2 v[3:4], v6, s[2:3] offset:16
	s_mov_b64 s[10:11], exec
	v_mbcnt_lo_u32_b32 v5, s10, 0
	v_mbcnt_hi_u32_b32 v5, s11, v5
	v_cmp_eq_u32_e32 vcc, 0, v5
	s_and_saveexec_b64 s[12:13], vcc
	s_cbranch_execz .LBB2_569
; %bb.568:
	s_bcnt1_i32_b64 s10, s[10:11]
	v_mov_b32_e32 v5, s10
	s_waitcnt vmcnt(0)
	global_atomic_add_x2 v[3:4], v[5:6], off offset:8
.LBB2_569:
	s_or_b64 exec, exec, s[12:13]
	s_waitcnt vmcnt(0)
	global_load_dwordx2 v[5:6], v[3:4], off offset:16
	s_waitcnt vmcnt(0)
	v_cmp_eq_u64_e32 vcc, 0, v[5:6]
	s_cbranch_vccnz .LBB2_571
; %bb.570:
	global_load_dword v3, v[3:4], off offset:24
	v_mov_b32_e32 v4, 0
	s_waitcnt vmcnt(0)
	v_readfirstlane_b32 s10, v3
	s_and_b32 m0, s10, 0xffffff
	global_store_dwordx2 v[5:6], v[3:4], off
	s_sendmsg sendmsg(MSG_INTERRUPT)
.LBB2_571:
	s_or_b64 exec, exec, s[8:9]
	s_branch .LBB2_575
.LBB2_572:                              ;   in Loop: Header=BB2_575 Depth=1
	s_or_b64 exec, exec, s[8:9]
	v_readfirstlane_b32 s8, v3
	s_cmp_eq_u32 s8, 0
	s_cbranch_scc1 .LBB2_574
; %bb.573:                              ;   in Loop: Header=BB2_575 Depth=1
	s_sleep 1
	s_cbranch_execnz .LBB2_575
	s_branch .LBB2_577
.LBB2_574:
	s_branch .LBB2_577
.LBB2_575:                              ; =>This Inner Loop Header: Depth=1
	v_mov_b32_e32 v3, 1
	s_and_saveexec_b64 s[8:9], s[0:1]
	s_cbranch_execz .LBB2_572
; %bb.576:                              ;   in Loop: Header=BB2_575 Depth=1
	global_load_dword v3, v[0:1], off offset:20 glc
	s_waitcnt vmcnt(0)
	buffer_wbinvl1_vol
	v_and_b32_e32 v3, 1, v3
	s_branch .LBB2_572
.LBB2_577:
	global_load_dwordx2 v[0:1], v[11:12], off
	s_and_saveexec_b64 s[8:9], s[0:1]
	s_cbranch_execz .LBB2_580
; %bb.578:
	v_mov_b32_e32 v9, 0
	global_load_dwordx2 v[3:4], v9, s[2:3] offset:40
	global_load_dwordx2 v[12:13], v9, s[2:3] offset:24 glc
	global_load_dwordx2 v[5:6], v9, s[2:3]
	s_waitcnt vmcnt(2)
	v_readfirstlane_b32 s10, v3
	v_readfirstlane_b32 s11, v4
	s_add_u32 s12, s10, 1
	s_addc_u32 s13, s11, 0
	s_add_u32 s0, s12, s6
	s_addc_u32 s1, s13, s7
	s_cmp_eq_u64 s[0:1], 0
	s_cselect_b32 s1, s13, s1
	s_cselect_b32 s0, s12, s0
	s_and_b64 s[6:7], s[0:1], s[10:11]
	s_mul_i32 s7, s7, 24
	s_mul_hi_u32 s10, s6, 24
	s_mul_i32 s6, s6, 24
	s_add_i32 s7, s10, s7
	v_mov_b32_e32 v3, s7
	s_waitcnt vmcnt(0)
	v_add_co_u32_e32 v7, vcc, s6, v5
	v_addc_co_u32_e32 v8, vcc, v6, v3, vcc
	v_mov_b32_e32 v10, s0
	global_store_dwordx2 v[7:8], v[12:13], off
	v_mov_b32_e32 v11, s1
	s_waitcnt vmcnt(0)
	global_atomic_cmpswap_x2 v[5:6], v9, v[10:13], s[2:3] offset:24 glc
	s_mov_b64 s[6:7], 0
	s_waitcnt vmcnt(0)
	v_cmp_ne_u64_e32 vcc, v[5:6], v[12:13]
	s_and_b64 exec, exec, vcc
	s_cbranch_execz .LBB2_580
.LBB2_579:                              ; =>This Inner Loop Header: Depth=1
	s_sleep 1
	global_store_dwordx2 v[7:8], v[5:6], off
	v_mov_b32_e32 v3, s0
	v_mov_b32_e32 v4, s1
	s_waitcnt vmcnt(0)
	global_atomic_cmpswap_x2 v[3:4], v9, v[3:6], s[2:3] offset:24 glc
	s_waitcnt vmcnt(0)
	v_cmp_eq_u64_e32 vcc, v[3:4], v[5:6]
	v_mov_b32_e32 v6, v4
	s_or_b64 s[6:7], vcc, s[6:7]
	v_mov_b32_e32 v5, v3
	s_andn2_b64 exec, exec, s[6:7]
	s_cbranch_execnz .LBB2_579
.LBB2_580:
	s_or_b64 exec, exec, s[8:9]
	v_readfirstlane_b32 s0, v33
	v_mov_b32_e32 v8, 0
	v_mov_b32_e32 v9, 0
	v_cmp_eq_u32_e64 s[0:1], s0, v33
	s_and_saveexec_b64 s[6:7], s[0:1]
	s_cbranch_execz .LBB2_586
; %bb.581:
	v_mov_b32_e32 v3, 0
	global_load_dwordx2 v[6:7], v3, s[2:3] offset:24 glc
	s_waitcnt vmcnt(0)
	buffer_wbinvl1_vol
	global_load_dwordx2 v[4:5], v3, s[2:3] offset:40
	global_load_dwordx2 v[8:9], v3, s[2:3]
	s_waitcnt vmcnt(1)
	v_and_b32_e32 v4, v4, v6
	v_and_b32_e32 v5, v5, v7
	v_mul_lo_u32 v5, v5, 24
	v_mul_hi_u32 v10, v4, 24
	v_mul_lo_u32 v4, v4, 24
	v_add_u32_e32 v5, v10, v5
	s_waitcnt vmcnt(0)
	v_add_co_u32_e32 v4, vcc, v8, v4
	v_addc_co_u32_e32 v5, vcc, v9, v5, vcc
	global_load_dwordx2 v[4:5], v[4:5], off glc
	s_waitcnt vmcnt(0)
	global_atomic_cmpswap_x2 v[8:9], v3, v[4:7], s[2:3] offset:24 glc
	s_waitcnt vmcnt(0)
	buffer_wbinvl1_vol
	v_cmp_ne_u64_e32 vcc, v[8:9], v[6:7]
	s_and_saveexec_b64 s[8:9], vcc
	s_cbranch_execz .LBB2_585
; %bb.582:
	s_mov_b64 s[10:11], 0
.LBB2_583:                              ; =>This Inner Loop Header: Depth=1
	s_sleep 1
	global_load_dwordx2 v[4:5], v3, s[2:3] offset:40
	global_load_dwordx2 v[10:11], v3, s[2:3]
	v_mov_b32_e32 v6, v8
	v_mov_b32_e32 v7, v9
	s_waitcnt vmcnt(1)
	v_and_b32_e32 v4, v4, v6
	s_waitcnt vmcnt(0)
	v_mad_u64_u32 v[8:9], s[12:13], v4, 24, v[10:11]
	v_and_b32_e32 v5, v5, v7
	v_mov_b32_e32 v4, v9
	v_mad_u64_u32 v[4:5], s[12:13], v5, 24, v[4:5]
	v_mov_b32_e32 v9, v4
	global_load_dwordx2 v[4:5], v[8:9], off glc
	s_waitcnt vmcnt(0)
	global_atomic_cmpswap_x2 v[8:9], v3, v[4:7], s[2:3] offset:24 glc
	s_waitcnt vmcnt(0)
	buffer_wbinvl1_vol
	v_cmp_eq_u64_e32 vcc, v[8:9], v[6:7]
	s_or_b64 s[10:11], vcc, s[10:11]
	s_andn2_b64 exec, exec, s[10:11]
	s_cbranch_execnz .LBB2_583
; %bb.584:
	s_or_b64 exec, exec, s[10:11]
.LBB2_585:
	s_or_b64 exec, exec, s[8:9]
.LBB2_586:
	s_or_b64 exec, exec, s[6:7]
	v_mov_b32_e32 v3, 0
	global_load_dwordx2 v[10:11], v3, s[2:3] offset:40
	global_load_dwordx4 v[4:7], v3, s[2:3]
	v_readfirstlane_b32 s7, v9
	v_readfirstlane_b32 s6, v8
	s_mov_b64 s[8:9], exec
	s_waitcnt vmcnt(1)
	v_readfirstlane_b32 s10, v10
	v_readfirstlane_b32 s11, v11
	s_and_b64 s[10:11], s[10:11], s[6:7]
	s_mul_i32 s12, s11, 24
	s_mul_hi_u32 s13, s10, 24
	s_mul_i32 s14, s10, 24
	s_add_i32 s12, s13, s12
	v_mov_b32_e32 v9, s12
	s_waitcnt vmcnt(0)
	v_add_co_u32_e32 v8, vcc, s14, v4
	v_addc_co_u32_e32 v9, vcc, v5, v9, vcc
	s_and_saveexec_b64 s[12:13], s[0:1]
	s_cbranch_execz .LBB2_588
; %bb.587:
	v_mov_b32_e32 v11, s9
	v_mov_b32_e32 v10, s8
	;; [unrolled: 1-line block ×4, first 2 shown]
	global_store_dwordx4 v[8:9], v[10:13], off offset:8
.LBB2_588:
	s_or_b64 exec, exec, s[12:13]
	s_lshl_b64 s[8:9], s[10:11], 12
	v_add_co_u32_e32 v6, vcc, s8, v6
	s_movk_i32 s8, 0xff1f
	v_mov_b32_e32 v10, s9
	v_and_or_b32 v0, v0, s8, 32
	s_mov_b32 s8, 0
	v_addc_co_u32_e32 v7, vcc, v7, v10, vcc
	s_mov_b32 s11, s8
	v_add_co_u32_e32 v10, vcc, v6, v32
	s_mov_b32 s9, s8
	s_mov_b32 s10, s8
	v_mov_b32_e32 v15, s11
	v_addc_co_u32_e32 v11, vcc, 0, v7, vcc
	v_readfirstlane_b32 s12, v6
	v_readfirstlane_b32 s13, v7
	v_mov_b32_e32 v14, s10
	v_mov_b32_e32 v13, s9
	v_mov_b32_e32 v12, s8
	s_nop 1
	global_store_dwordx4 v32, v[0:3], s[12:13]
	global_store_dwordx4 v32, v[12:15], s[12:13] offset:16
	global_store_dwordx4 v32, v[12:15], s[12:13] offset:32
	global_store_dwordx4 v32, v[12:15], s[12:13] offset:48
	s_and_saveexec_b64 s[8:9], s[0:1]
	s_cbranch_execz .LBB2_596
; %bb.589:
	v_mov_b32_e32 v7, 0
	global_load_dwordx2 v[14:15], v7, s[2:3] offset:32 glc
	global_load_dwordx2 v[0:1], v7, s[2:3] offset:40
	v_mov_b32_e32 v12, s6
	v_mov_b32_e32 v13, s7
	s_waitcnt vmcnt(0)
	v_readfirstlane_b32 s10, v0
	v_readfirstlane_b32 s11, v1
	s_and_b64 s[10:11], s[10:11], s[6:7]
	s_mul_i32 s11, s11, 24
	s_mul_hi_u32 s12, s10, 24
	s_mul_i32 s10, s10, 24
	s_add_i32 s11, s12, s11
	v_mov_b32_e32 v1, s11
	v_add_co_u32_e32 v0, vcc, s10, v4
	v_addc_co_u32_e32 v1, vcc, v5, v1, vcc
	global_store_dwordx2 v[0:1], v[14:15], off
	s_waitcnt vmcnt(0)
	global_atomic_cmpswap_x2 v[5:6], v7, v[12:15], s[2:3] offset:32 glc
	s_waitcnt vmcnt(0)
	v_cmp_ne_u64_e32 vcc, v[5:6], v[14:15]
	s_and_saveexec_b64 s[10:11], vcc
	s_cbranch_execz .LBB2_592
; %bb.590:
	s_mov_b64 s[12:13], 0
.LBB2_591:                              ; =>This Inner Loop Header: Depth=1
	s_sleep 1
	global_store_dwordx2 v[0:1], v[5:6], off
	v_mov_b32_e32 v3, s6
	v_mov_b32_e32 v4, s7
	s_waitcnt vmcnt(0)
	global_atomic_cmpswap_x2 v[3:4], v7, v[3:6], s[2:3] offset:32 glc
	s_waitcnt vmcnt(0)
	v_cmp_eq_u64_e32 vcc, v[3:4], v[5:6]
	v_mov_b32_e32 v6, v4
	s_or_b64 s[12:13], vcc, s[12:13]
	v_mov_b32_e32 v5, v3
	s_andn2_b64 exec, exec, s[12:13]
	s_cbranch_execnz .LBB2_591
.LBB2_592:
	s_or_b64 exec, exec, s[10:11]
	v_mov_b32_e32 v4, 0
	global_load_dwordx2 v[0:1], v4, s[2:3] offset:16
	s_mov_b64 s[10:11], exec
	v_mbcnt_lo_u32_b32 v3, s10, 0
	v_mbcnt_hi_u32_b32 v3, s11, v3
	v_cmp_eq_u32_e32 vcc, 0, v3
	s_and_saveexec_b64 s[12:13], vcc
	s_cbranch_execz .LBB2_594
; %bb.593:
	s_bcnt1_i32_b64 s10, s[10:11]
	v_mov_b32_e32 v3, s10
	s_waitcnt vmcnt(0)
	global_atomic_add_x2 v[0:1], v[3:4], off offset:8
.LBB2_594:
	s_or_b64 exec, exec, s[12:13]
	s_waitcnt vmcnt(0)
	global_load_dwordx2 v[3:4], v[0:1], off offset:16
	s_waitcnt vmcnt(0)
	v_cmp_eq_u64_e32 vcc, 0, v[3:4]
	s_cbranch_vccnz .LBB2_596
; %bb.595:
	global_load_dword v0, v[0:1], off offset:24
	v_mov_b32_e32 v1, 0
	s_waitcnt vmcnt(0)
	v_readfirstlane_b32 s10, v0
	s_and_b32 m0, s10, 0xffffff
	global_store_dwordx2 v[3:4], v[0:1], off
	s_sendmsg sendmsg(MSG_INTERRUPT)
.LBB2_596:
	s_or_b64 exec, exec, s[8:9]
	s_branch .LBB2_600
.LBB2_597:                              ;   in Loop: Header=BB2_600 Depth=1
	s_or_b64 exec, exec, s[8:9]
	v_readfirstlane_b32 s8, v0
	s_cmp_eq_u32 s8, 0
	s_cbranch_scc1 .LBB2_599
; %bb.598:                              ;   in Loop: Header=BB2_600 Depth=1
	s_sleep 1
	s_cbranch_execnz .LBB2_600
	s_branch .LBB2_602
.LBB2_599:
	s_branch .LBB2_602
.LBB2_600:                              ; =>This Inner Loop Header: Depth=1
	v_mov_b32_e32 v0, 1
	s_and_saveexec_b64 s[8:9], s[0:1]
	s_cbranch_execz .LBB2_597
; %bb.601:                              ;   in Loop: Header=BB2_600 Depth=1
	global_load_dword v0, v[8:9], off offset:20 glc
	s_waitcnt vmcnt(0)
	buffer_wbinvl1_vol
	v_and_b32_e32 v0, 1, v0
	s_branch .LBB2_597
.LBB2_602:
	global_load_dwordx2 v[3:4], v[10:11], off
	s_and_saveexec_b64 s[8:9], s[0:1]
	s_cbranch_execz .LBB2_605
; %bb.603:
	v_mov_b32_e32 v9, 0
	global_load_dwordx2 v[0:1], v9, s[2:3] offset:40
	global_load_dwordx2 v[12:13], v9, s[2:3] offset:24 glc
	global_load_dwordx2 v[5:6], v9, s[2:3]
	s_waitcnt vmcnt(2)
	v_readfirstlane_b32 s10, v0
	v_readfirstlane_b32 s11, v1
	s_add_u32 s12, s10, 1
	s_addc_u32 s13, s11, 0
	s_add_u32 s0, s12, s6
	s_addc_u32 s1, s13, s7
	s_cmp_eq_u64 s[0:1], 0
	s_cselect_b32 s1, s13, s1
	s_cselect_b32 s0, s12, s0
	s_and_b64 s[6:7], s[0:1], s[10:11]
	s_mul_i32 s7, s7, 24
	s_mul_hi_u32 s10, s6, 24
	s_mul_i32 s6, s6, 24
	s_add_i32 s7, s10, s7
	v_mov_b32_e32 v1, s7
	s_waitcnt vmcnt(0)
	v_add_co_u32_e32 v0, vcc, s6, v5
	v_addc_co_u32_e32 v1, vcc, v6, v1, vcc
	v_mov_b32_e32 v10, s0
	global_store_dwordx2 v[0:1], v[12:13], off
	v_mov_b32_e32 v11, s1
	s_waitcnt vmcnt(0)
	global_atomic_cmpswap_x2 v[7:8], v9, v[10:13], s[2:3] offset:24 glc
	s_mov_b64 s[6:7], 0
	s_waitcnt vmcnt(0)
	v_cmp_ne_u64_e32 vcc, v[7:8], v[12:13]
	s_and_b64 exec, exec, vcc
	s_cbranch_execz .LBB2_605
.LBB2_604:                              ; =>This Inner Loop Header: Depth=1
	s_sleep 1
	global_store_dwordx2 v[0:1], v[7:8], off
	v_mov_b32_e32 v5, s0
	v_mov_b32_e32 v6, s1
	s_waitcnt vmcnt(0)
	global_atomic_cmpswap_x2 v[5:6], v9, v[5:8], s[2:3] offset:24 glc
	s_waitcnt vmcnt(0)
	v_cmp_eq_u64_e32 vcc, v[5:6], v[7:8]
	v_mov_b32_e32 v8, v6
	s_or_b64 s[6:7], vcc, s[6:7]
	v_mov_b32_e32 v7, v5
	s_andn2_b64 exec, exec, s[6:7]
	s_cbranch_execnz .LBB2_604
.LBB2_605:
	s_or_b64 exec, exec, s[8:9]
	v_readfirstlane_b32 s0, v33
	v_mov_b32_e32 v0, 0
	v_mov_b32_e32 v1, 0
	v_cmp_eq_u32_e64 s[0:1], s0, v33
	s_and_saveexec_b64 s[6:7], s[0:1]
	s_cbranch_execz .LBB2_611
; %bb.606:
	v_mov_b32_e32 v5, 0
	global_load_dwordx2 v[8:9], v5, s[2:3] offset:24 glc
	s_waitcnt vmcnt(0)
	buffer_wbinvl1_vol
	global_load_dwordx2 v[0:1], v5, s[2:3] offset:40
	global_load_dwordx2 v[6:7], v5, s[2:3]
	s_waitcnt vmcnt(1)
	v_and_b32_e32 v0, v0, v8
	v_and_b32_e32 v1, v1, v9
	v_mul_lo_u32 v1, v1, 24
	v_mul_hi_u32 v10, v0, 24
	v_mul_lo_u32 v0, v0, 24
	v_add_u32_e32 v1, v10, v1
	s_waitcnt vmcnt(0)
	v_add_co_u32_e32 v0, vcc, v6, v0
	v_addc_co_u32_e32 v1, vcc, v7, v1, vcc
	global_load_dwordx2 v[6:7], v[0:1], off glc
	s_waitcnt vmcnt(0)
	global_atomic_cmpswap_x2 v[0:1], v5, v[6:9], s[2:3] offset:24 glc
	s_waitcnt vmcnt(0)
	buffer_wbinvl1_vol
	v_cmp_ne_u64_e32 vcc, v[0:1], v[8:9]
	s_and_saveexec_b64 s[8:9], vcc
	s_cbranch_execz .LBB2_610
; %bb.607:
	s_mov_b64 s[10:11], 0
.LBB2_608:                              ; =>This Inner Loop Header: Depth=1
	s_sleep 1
	global_load_dwordx2 v[6:7], v5, s[2:3] offset:40
	global_load_dwordx2 v[10:11], v5, s[2:3]
	v_mov_b32_e32 v9, v1
	v_mov_b32_e32 v8, v0
	s_waitcnt vmcnt(1)
	v_and_b32_e32 v0, v6, v8
	s_waitcnt vmcnt(0)
	v_mad_u64_u32 v[0:1], s[12:13], v0, 24, v[10:11]
	v_and_b32_e32 v6, v7, v9
	v_mad_u64_u32 v[6:7], s[12:13], v6, 24, v[1:2]
	v_mov_b32_e32 v1, v6
	global_load_dwordx2 v[6:7], v[0:1], off glc
	s_waitcnt vmcnt(0)
	global_atomic_cmpswap_x2 v[0:1], v5, v[6:9], s[2:3] offset:24 glc
	s_waitcnt vmcnt(0)
	buffer_wbinvl1_vol
	v_cmp_eq_u64_e32 vcc, v[0:1], v[8:9]
	s_or_b64 s[10:11], vcc, s[10:11]
	s_andn2_b64 exec, exec, s[10:11]
	s_cbranch_execnz .LBB2_608
; %bb.609:
	s_or_b64 exec, exec, s[10:11]
.LBB2_610:
	s_or_b64 exec, exec, s[8:9]
.LBB2_611:
	s_or_b64 exec, exec, s[6:7]
	v_mov_b32_e32 v6, 0
	global_load_dwordx2 v[11:12], v6, s[2:3] offset:40
	global_load_dwordx4 v[7:10], v6, s[2:3]
	v_readfirstlane_b32 s7, v1
	v_readfirstlane_b32 s6, v0
	s_mov_b64 s[8:9], exec
	s_waitcnt vmcnt(1)
	v_readfirstlane_b32 s10, v11
	v_readfirstlane_b32 s11, v12
	s_and_b64 s[10:11], s[10:11], s[6:7]
	s_mul_i32 s12, s11, 24
	s_mul_hi_u32 s13, s10, 24
	s_mul_i32 s14, s10, 24
	s_add_i32 s12, s13, s12
	v_mov_b32_e32 v1, s12
	s_waitcnt vmcnt(0)
	v_add_co_u32_e32 v0, vcc, s14, v7
	v_addc_co_u32_e32 v1, vcc, v8, v1, vcc
	s_and_saveexec_b64 s[12:13], s[0:1]
	s_cbranch_execz .LBB2_613
; %bb.612:
	v_mov_b32_e32 v12, s9
	v_mov_b32_e32 v11, s8
	;; [unrolled: 1-line block ×4, first 2 shown]
	global_store_dwordx4 v[0:1], v[11:14], off offset:8
.LBB2_613:
	s_or_b64 exec, exec, s[12:13]
	s_lshl_b64 s[8:9], s[10:11], 12
	v_add_co_u32_e32 v9, vcc, s8, v9
	s_movk_i32 s8, 0xff1f
	v_mov_b32_e32 v5, s9
	v_and_or_b32 v3, v3, s8, 32
	s_mov_b32 s8, 0
	v_addc_co_u32_e32 v10, vcc, v10, v5, vcc
	s_mov_b32 s11, s8
	v_add_co_u32_e32 v11, vcc, v9, v32
	s_mov_b32 s9, s8
	s_mov_b32 s10, s8
	v_mov_b32_e32 v16, s11
	v_lshrrev_b32_e32 v5, 1, v29
	v_addc_co_u32_e32 v12, vcc, 0, v10, vcc
	v_readfirstlane_b32 s12, v9
	v_readfirstlane_b32 s13, v10
	v_mov_b32_e32 v15, s10
	v_mov_b32_e32 v14, s9
	;; [unrolled: 1-line block ×3, first 2 shown]
	s_nop 1
	global_store_dwordx4 v32, v[3:6], s[12:13]
	global_store_dwordx4 v32, v[13:16], s[12:13] offset:16
	global_store_dwordx4 v32, v[13:16], s[12:13] offset:32
	;; [unrolled: 1-line block ×3, first 2 shown]
	s_and_saveexec_b64 s[8:9], s[0:1]
	s_cbranch_execz .LBB2_621
; %bb.614:
	v_mov_b32_e32 v13, 0
	global_load_dwordx2 v[16:17], v13, s[2:3] offset:32 glc
	global_load_dwordx2 v[3:4], v13, s[2:3] offset:40
	v_mov_b32_e32 v14, s6
	v_mov_b32_e32 v15, s7
	s_waitcnt vmcnt(0)
	v_readfirstlane_b32 s10, v3
	v_readfirstlane_b32 s11, v4
	s_and_b64 s[10:11], s[10:11], s[6:7]
	s_mul_i32 s11, s11, 24
	s_mul_hi_u32 s12, s10, 24
	s_mul_i32 s10, s10, 24
	s_add_i32 s11, s12, s11
	v_mov_b32_e32 v4, s11
	v_add_co_u32_e32 v3, vcc, s10, v7
	v_addc_co_u32_e32 v4, vcc, v8, v4, vcc
	global_store_dwordx2 v[3:4], v[16:17], off
	s_waitcnt vmcnt(0)
	global_atomic_cmpswap_x2 v[9:10], v13, v[14:17], s[2:3] offset:32 glc
	s_waitcnt vmcnt(0)
	v_cmp_ne_u64_e32 vcc, v[9:10], v[16:17]
	s_and_saveexec_b64 s[10:11], vcc
	s_cbranch_execz .LBB2_617
; %bb.615:
	s_mov_b64 s[12:13], 0
.LBB2_616:                              ; =>This Inner Loop Header: Depth=1
	s_sleep 1
	global_store_dwordx2 v[3:4], v[9:10], off
	v_mov_b32_e32 v7, s6
	v_mov_b32_e32 v8, s7
	s_waitcnt vmcnt(0)
	global_atomic_cmpswap_x2 v[7:8], v13, v[7:10], s[2:3] offset:32 glc
	s_waitcnt vmcnt(0)
	v_cmp_eq_u64_e32 vcc, v[7:8], v[9:10]
	v_mov_b32_e32 v10, v8
	s_or_b64 s[12:13], vcc, s[12:13]
	v_mov_b32_e32 v9, v7
	s_andn2_b64 exec, exec, s[12:13]
	s_cbranch_execnz .LBB2_616
.LBB2_617:
	s_or_b64 exec, exec, s[10:11]
	v_mov_b32_e32 v8, 0
	global_load_dwordx2 v[3:4], v8, s[2:3] offset:16
	s_mov_b64 s[10:11], exec
	v_mbcnt_lo_u32_b32 v7, s10, 0
	v_mbcnt_hi_u32_b32 v7, s11, v7
	v_cmp_eq_u32_e32 vcc, 0, v7
	s_and_saveexec_b64 s[12:13], vcc
	s_cbranch_execz .LBB2_619
; %bb.618:
	s_bcnt1_i32_b64 s10, s[10:11]
	v_mov_b32_e32 v7, s10
	s_waitcnt vmcnt(0)
	global_atomic_add_x2 v[3:4], v[7:8], off offset:8
.LBB2_619:
	s_or_b64 exec, exec, s[12:13]
	s_waitcnt vmcnt(0)
	global_load_dwordx2 v[7:8], v[3:4], off offset:16
	s_waitcnt vmcnt(0)
	v_cmp_eq_u64_e32 vcc, 0, v[7:8]
	s_cbranch_vccnz .LBB2_621
; %bb.620:
	global_load_dword v3, v[3:4], off offset:24
	v_mov_b32_e32 v4, 0
	s_waitcnt vmcnt(0)
	v_readfirstlane_b32 s10, v3
	s_and_b32 m0, s10, 0xffffff
	global_store_dwordx2 v[7:8], v[3:4], off
	s_sendmsg sendmsg(MSG_INTERRUPT)
.LBB2_621:
	s_or_b64 exec, exec, s[8:9]
	s_branch .LBB2_625
.LBB2_622:                              ;   in Loop: Header=BB2_625 Depth=1
	s_or_b64 exec, exec, s[8:9]
	v_readfirstlane_b32 s8, v3
	s_cmp_eq_u32 s8, 0
	s_cbranch_scc1 .LBB2_624
; %bb.623:                              ;   in Loop: Header=BB2_625 Depth=1
	s_sleep 1
	s_cbranch_execnz .LBB2_625
	s_branch .LBB2_627
.LBB2_624:
	s_branch .LBB2_627
.LBB2_625:                              ; =>This Inner Loop Header: Depth=1
	v_mov_b32_e32 v3, 1
	s_and_saveexec_b64 s[8:9], s[0:1]
	s_cbranch_execz .LBB2_622
; %bb.626:                              ;   in Loop: Header=BB2_625 Depth=1
	global_load_dword v3, v[0:1], off offset:20 glc
	s_waitcnt vmcnt(0)
	buffer_wbinvl1_vol
	v_and_b32_e32 v3, 1, v3
	s_branch .LBB2_622
.LBB2_627:
	global_load_dwordx2 v[7:8], v[11:12], off
	s_and_saveexec_b64 s[8:9], s[0:1]
	s_cbranch_execz .LBB2_630
; %bb.628:
	v_mov_b32_e32 v3, 0
	global_load_dwordx2 v[0:1], v3, s[2:3] offset:40
	global_load_dwordx2 v[13:14], v3, s[2:3] offset:24 glc
	global_load_dwordx2 v[9:10], v3, s[2:3]
	s_waitcnt vmcnt(2)
	v_readfirstlane_b32 s10, v0
	v_readfirstlane_b32 s11, v1
	s_add_u32 s12, s10, 1
	s_addc_u32 s13, s11, 0
	s_add_u32 s0, s12, s6
	s_addc_u32 s1, s13, s7
	s_cmp_eq_u64 s[0:1], 0
	s_cselect_b32 s1, s13, s1
	s_cselect_b32 s0, s12, s0
	s_and_b64 s[6:7], s[0:1], s[10:11]
	s_mul_i32 s7, s7, 24
	s_mul_hi_u32 s10, s6, 24
	s_mul_i32 s6, s6, 24
	s_add_i32 s7, s10, s7
	v_mov_b32_e32 v1, s7
	s_waitcnt vmcnt(0)
	v_add_co_u32_e32 v0, vcc, s6, v9
	v_addc_co_u32_e32 v1, vcc, v10, v1, vcc
	v_mov_b32_e32 v11, s0
	global_store_dwordx2 v[0:1], v[13:14], off
	v_mov_b32_e32 v12, s1
	s_waitcnt vmcnt(0)
	global_atomic_cmpswap_x2 v[11:12], v3, v[11:14], s[2:3] offset:24 glc
	s_mov_b64 s[6:7], 0
	s_waitcnt vmcnt(0)
	v_cmp_ne_u64_e32 vcc, v[11:12], v[13:14]
	s_and_b64 exec, exec, vcc
	s_cbranch_execz .LBB2_630
.LBB2_629:                              ; =>This Inner Loop Header: Depth=1
	s_sleep 1
	global_store_dwordx2 v[0:1], v[11:12], off
	v_mov_b32_e32 v9, s0
	v_mov_b32_e32 v10, s1
	s_waitcnt vmcnt(0)
	global_atomic_cmpswap_x2 v[9:10], v3, v[9:12], s[2:3] offset:24 glc
	s_waitcnt vmcnt(0)
	v_cmp_eq_u64_e32 vcc, v[9:10], v[11:12]
	v_mov_b32_e32 v12, v10
	s_or_b64 s[6:7], vcc, s[6:7]
	v_mov_b32_e32 v11, v9
	s_andn2_b64 exec, exec, s[6:7]
	s_cbranch_execnz .LBB2_629
.LBB2_630:
	s_or_b64 exec, exec, s[8:9]
	v_readfirstlane_b32 s0, v33
	v_mov_b32_e32 v0, 0
	v_mov_b32_e32 v1, 0
	v_cmp_eq_u32_e64 s[0:1], s0, v33
	s_and_saveexec_b64 s[6:7], s[0:1]
	s_cbranch_execz .LBB2_636
; %bb.631:
	v_mov_b32_e32 v3, 0
	global_load_dwordx2 v[11:12], v3, s[2:3] offset:24 glc
	s_waitcnt vmcnt(0)
	buffer_wbinvl1_vol
	global_load_dwordx2 v[0:1], v3, s[2:3] offset:40
	global_load_dwordx2 v[9:10], v3, s[2:3]
	s_waitcnt vmcnt(1)
	v_and_b32_e32 v0, v0, v11
	v_and_b32_e32 v1, v1, v12
	v_mul_lo_u32 v1, v1, 24
	v_mul_hi_u32 v4, v0, 24
	v_mul_lo_u32 v0, v0, 24
	v_add_u32_e32 v1, v4, v1
	s_waitcnt vmcnt(0)
	v_add_co_u32_e32 v0, vcc, v9, v0
	v_addc_co_u32_e32 v1, vcc, v10, v1, vcc
	global_load_dwordx2 v[9:10], v[0:1], off glc
	s_waitcnt vmcnt(0)
	global_atomic_cmpswap_x2 v[0:1], v3, v[9:12], s[2:3] offset:24 glc
	s_waitcnt vmcnt(0)
	buffer_wbinvl1_vol
	v_cmp_ne_u64_e32 vcc, v[0:1], v[11:12]
	s_and_saveexec_b64 s[8:9], vcc
	s_cbranch_execz .LBB2_635
; %bb.632:
	s_mov_b64 s[10:11], 0
.LBB2_633:                              ; =>This Inner Loop Header: Depth=1
	s_sleep 1
	global_load_dwordx2 v[9:10], v3, s[2:3] offset:40
	global_load_dwordx2 v[13:14], v3, s[2:3]
	v_mov_b32_e32 v12, v1
	v_mov_b32_e32 v11, v0
	s_waitcnt vmcnt(1)
	v_and_b32_e32 v0, v9, v11
	s_waitcnt vmcnt(0)
	v_mad_u64_u32 v[0:1], s[12:13], v0, 24, v[13:14]
	v_and_b32_e32 v4, v10, v12
	v_mad_u64_u32 v[9:10], s[12:13], v4, 24, v[1:2]
	v_mov_b32_e32 v1, v9
	global_load_dwordx2 v[9:10], v[0:1], off glc
	s_waitcnt vmcnt(0)
	global_atomic_cmpswap_x2 v[0:1], v3, v[9:12], s[2:3] offset:24 glc
	s_waitcnt vmcnt(0)
	buffer_wbinvl1_vol
	v_cmp_eq_u64_e32 vcc, v[0:1], v[11:12]
	s_or_b64 s[10:11], vcc, s[10:11]
	s_andn2_b64 exec, exec, s[10:11]
	s_cbranch_execnz .LBB2_633
; %bb.634:
	s_or_b64 exec, exec, s[10:11]
.LBB2_635:
	s_or_b64 exec, exec, s[8:9]
.LBB2_636:
	s_or_b64 exec, exec, s[6:7]
	v_mov_b32_e32 v10, 0
	global_load_dwordx2 v[3:4], v10, s[2:3] offset:40
	global_load_dwordx4 v[11:14], v10, s[2:3]
	v_readfirstlane_b32 s7, v1
	v_readfirstlane_b32 s6, v0
	s_mov_b64 s[8:9], exec
	s_waitcnt vmcnt(1)
	v_readfirstlane_b32 s10, v3
	v_readfirstlane_b32 s11, v4
	s_and_b64 s[10:11], s[10:11], s[6:7]
	s_mul_i32 s12, s11, 24
	s_mul_hi_u32 s13, s10, 24
	s_mul_i32 s14, s10, 24
	s_add_i32 s12, s13, s12
	v_mov_b32_e32 v1, s12
	s_waitcnt vmcnt(0)
	v_add_co_u32_e32 v0, vcc, s14, v11
	v_addc_co_u32_e32 v1, vcc, v12, v1, vcc
	s_and_saveexec_b64 s[12:13], s[0:1]
	s_cbranch_execz .LBB2_638
; %bb.637:
	v_mov_b32_e32 v16, s9
	v_mov_b32_e32 v15, s8
	;; [unrolled: 1-line block ×4, first 2 shown]
	global_store_dwordx4 v[0:1], v[15:18], off offset:8
.LBB2_638:
	s_or_b64 exec, exec, s[12:13]
	s_lshl_b64 s[8:9], s[10:11], 12
	v_mov_b32_e32 v3, s9
	v_add_co_u32_e32 v4, vcc, s8, v13
	s_add_i32 s26, s26, 1
	v_addc_co_u32_e32 v3, vcc, v14, v3, vcc
	s_lshr_b32 s9, s26, 1
	s_movk_i32 s10, 0xff1d
	s_mov_b32 s8, 0
	v_and_or_b32 v7, v7, s10, 34
	v_mov_b32_e32 v9, s9
	v_readfirstlane_b32 s12, v4
	v_readfirstlane_b32 s13, v3
	s_mov_b32 s9, s8
	s_mov_b32 s10, s8
	s_mov_b32 s11, s8
	s_nop 1
	global_store_dwordx4 v32, v[7:10], s[12:13]
	s_nop 0
	v_mov_b32_e32 v7, s8
	v_mov_b32_e32 v8, s9
	;; [unrolled: 1-line block ×4, first 2 shown]
	global_store_dwordx4 v32, v[7:10], s[12:13] offset:16
	global_store_dwordx4 v32, v[7:10], s[12:13] offset:32
	;; [unrolled: 1-line block ×3, first 2 shown]
	s_and_saveexec_b64 s[8:9], s[0:1]
	s_cbranch_execz .LBB2_646
; %bb.639:
	v_mov_b32_e32 v13, 0
	global_load_dwordx2 v[16:17], v13, s[2:3] offset:32 glc
	global_load_dwordx2 v[3:4], v13, s[2:3] offset:40
	v_mov_b32_e32 v14, s6
	v_mov_b32_e32 v15, s7
	s_waitcnt vmcnt(0)
	v_readfirstlane_b32 s10, v3
	v_readfirstlane_b32 s11, v4
	s_and_b64 s[10:11], s[10:11], s[6:7]
	s_mul_i32 s11, s11, 24
	s_mul_hi_u32 s12, s10, 24
	s_mul_i32 s10, s10, 24
	s_add_i32 s11, s12, s11
	v_mov_b32_e32 v4, s11
	v_add_co_u32_e32 v3, vcc, s10, v11
	v_addc_co_u32_e32 v4, vcc, v12, v4, vcc
	global_store_dwordx2 v[3:4], v[16:17], off
	s_waitcnt vmcnt(0)
	global_atomic_cmpswap_x2 v[9:10], v13, v[14:17], s[2:3] offset:32 glc
	s_waitcnt vmcnt(0)
	v_cmp_ne_u64_e32 vcc, v[9:10], v[16:17]
	s_and_saveexec_b64 s[10:11], vcc
	s_cbranch_execz .LBB2_642
; %bb.640:
	s_mov_b64 s[12:13], 0
.LBB2_641:                              ; =>This Inner Loop Header: Depth=1
	s_sleep 1
	global_store_dwordx2 v[3:4], v[9:10], off
	v_mov_b32_e32 v7, s6
	v_mov_b32_e32 v8, s7
	s_waitcnt vmcnt(0)
	global_atomic_cmpswap_x2 v[7:8], v13, v[7:10], s[2:3] offset:32 glc
	s_waitcnt vmcnt(0)
	v_cmp_eq_u64_e32 vcc, v[7:8], v[9:10]
	v_mov_b32_e32 v10, v8
	s_or_b64 s[12:13], vcc, s[12:13]
	v_mov_b32_e32 v9, v7
	s_andn2_b64 exec, exec, s[12:13]
	s_cbranch_execnz .LBB2_641
.LBB2_642:
	s_or_b64 exec, exec, s[10:11]
	v_mov_b32_e32 v8, 0
	global_load_dwordx2 v[3:4], v8, s[2:3] offset:16
	s_mov_b64 s[10:11], exec
	v_mbcnt_lo_u32_b32 v7, s10, 0
	v_mbcnt_hi_u32_b32 v7, s11, v7
	v_cmp_eq_u32_e32 vcc, 0, v7
	s_and_saveexec_b64 s[12:13], vcc
	s_cbranch_execz .LBB2_644
; %bb.643:
	s_bcnt1_i32_b64 s10, s[10:11]
	v_mov_b32_e32 v7, s10
	s_waitcnt vmcnt(0)
	global_atomic_add_x2 v[3:4], v[7:8], off offset:8
.LBB2_644:
	s_or_b64 exec, exec, s[12:13]
	s_waitcnt vmcnt(0)
	global_load_dwordx2 v[7:8], v[3:4], off offset:16
	s_waitcnt vmcnt(0)
	v_cmp_eq_u64_e32 vcc, 0, v[7:8]
	s_cbranch_vccnz .LBB2_646
; %bb.645:
	global_load_dword v3, v[3:4], off offset:24
	v_mov_b32_e32 v4, 0
	s_waitcnt vmcnt(0)
	v_readfirstlane_b32 s10, v3
	s_and_b32 m0, s10, 0xffffff
	global_store_dwordx2 v[7:8], v[3:4], off
	s_sendmsg sendmsg(MSG_INTERRUPT)
.LBB2_646:
	s_or_b64 exec, exec, s[8:9]
	s_branch .LBB2_650
.LBB2_647:                              ;   in Loop: Header=BB2_650 Depth=1
	s_or_b64 exec, exec, s[8:9]
	v_readfirstlane_b32 s8, v3
	s_cmp_eq_u32 s8, 0
	s_cbranch_scc1 .LBB2_649
; %bb.648:                              ;   in Loop: Header=BB2_650 Depth=1
	s_sleep 1
	s_cbranch_execnz .LBB2_650
	s_branch .LBB2_652
.LBB2_649:
	s_branch .LBB2_652
.LBB2_650:                              ; =>This Inner Loop Header: Depth=1
	v_mov_b32_e32 v3, 1
	s_and_saveexec_b64 s[8:9], s[0:1]
	s_cbranch_execz .LBB2_647
; %bb.651:                              ;   in Loop: Header=BB2_650 Depth=1
	global_load_dword v3, v[0:1], off offset:20 glc
	s_waitcnt vmcnt(0)
	buffer_wbinvl1_vol
	v_and_b32_e32 v3, 1, v3
	s_branch .LBB2_647
.LBB2_652:
	s_and_saveexec_b64 s[8:9], s[0:1]
	s_cbranch_execz .LBB2_655
; %bb.653:
	v_mov_b32_e32 v3, 0
	global_load_dwordx2 v[0:1], v3, s[2:3] offset:40
	global_load_dwordx2 v[11:12], v3, s[2:3] offset:24 glc
	global_load_dwordx2 v[7:8], v3, s[2:3]
	s_waitcnt vmcnt(2)
	v_readfirstlane_b32 s10, v0
	v_readfirstlane_b32 s11, v1
	s_add_u32 s12, s10, 1
	s_addc_u32 s13, s11, 0
	s_add_u32 s0, s12, s6
	s_addc_u32 s1, s13, s7
	s_cmp_eq_u64 s[0:1], 0
	s_cselect_b32 s1, s13, s1
	s_cselect_b32 s0, s12, s0
	s_and_b64 s[6:7], s[0:1], s[10:11]
	s_mul_i32 s7, s7, 24
	s_mul_hi_u32 s10, s6, 24
	s_mul_i32 s6, s6, 24
	s_add_i32 s7, s10, s7
	v_mov_b32_e32 v1, s7
	s_waitcnt vmcnt(0)
	v_add_co_u32_e32 v0, vcc, s6, v7
	v_addc_co_u32_e32 v1, vcc, v8, v1, vcc
	v_mov_b32_e32 v9, s0
	global_store_dwordx2 v[0:1], v[11:12], off
	v_mov_b32_e32 v10, s1
	s_waitcnt vmcnt(0)
	global_atomic_cmpswap_x2 v[9:10], v3, v[9:12], s[2:3] offset:24 glc
	s_mov_b64 s[6:7], 0
	s_waitcnt vmcnt(0)
	v_cmp_ne_u64_e32 vcc, v[9:10], v[11:12]
	s_and_b64 exec, exec, vcc
	s_cbranch_execz .LBB2_655
.LBB2_654:                              ; =>This Inner Loop Header: Depth=1
	s_sleep 1
	global_store_dwordx2 v[0:1], v[9:10], off
	v_mov_b32_e32 v7, s0
	v_mov_b32_e32 v8, s1
	s_waitcnt vmcnt(0)
	global_atomic_cmpswap_x2 v[7:8], v3, v[7:10], s[2:3] offset:24 glc
	s_waitcnt vmcnt(0)
	v_cmp_eq_u64_e32 vcc, v[7:8], v[9:10]
	v_mov_b32_e32 v10, v8
	s_or_b64 s[6:7], vcc, s[6:7]
	v_mov_b32_e32 v9, v7
	s_andn2_b64 exec, exec, s[6:7]
	s_cbranch_execnz .LBB2_654
.LBB2_655:
	s_or_b64 exec, exec, s[8:9]
	s_load_dwordx2 s[0:1], s[4:5], 0x0
	v_lshlrev_b64 v[0:1], 2, v[5:6]
	s_waitcnt lgkmcnt(0)
	v_mov_b32_e32 v3, s1
	v_add_co_u32_e32 v0, vcc, s0, v0
	v_addc_co_u32_e32 v1, vcc, v3, v1, vcc
	global_store_dword v[0:1], v2, off
	s_endpgm
	.section	.rodata,"a",@progbits
	.p2align	6, 0x0
	.amdhsa_kernel _Z32kernel_cg_group_partition_staticILj2EEvPibS0_
		.amdhsa_group_segment_fixed_size 0
		.amdhsa_private_segment_fixed_size 0
		.amdhsa_kernarg_size 280
		.amdhsa_user_sgpr_count 6
		.amdhsa_user_sgpr_private_segment_buffer 1
		.amdhsa_user_sgpr_dispatch_ptr 0
		.amdhsa_user_sgpr_queue_ptr 0
		.amdhsa_user_sgpr_kernarg_segment_ptr 1
		.amdhsa_user_sgpr_dispatch_id 0
		.amdhsa_user_sgpr_flat_scratch_init 0
		.amdhsa_user_sgpr_private_segment_size 0
		.amdhsa_uses_dynamic_stack 0
		.amdhsa_system_sgpr_private_segment_wavefront_offset 0
		.amdhsa_system_sgpr_workgroup_id_x 1
		.amdhsa_system_sgpr_workgroup_id_y 0
		.amdhsa_system_sgpr_workgroup_id_z 0
		.amdhsa_system_sgpr_workgroup_info 0
		.amdhsa_system_vgpr_workitem_id 2
		.amdhsa_next_free_vgpr 35
		.amdhsa_next_free_sgpr 30
		.amdhsa_reserve_vcc 1
		.amdhsa_reserve_flat_scratch 0
		.amdhsa_float_round_mode_32 0
		.amdhsa_float_round_mode_16_64 0
		.amdhsa_float_denorm_mode_32 3
		.amdhsa_float_denorm_mode_16_64 3
		.amdhsa_dx10_clamp 1
		.amdhsa_ieee_mode 1
		.amdhsa_fp16_overflow 0
		.amdhsa_exception_fp_ieee_invalid_op 0
		.amdhsa_exception_fp_denorm_src 0
		.amdhsa_exception_fp_ieee_div_zero 0
		.amdhsa_exception_fp_ieee_overflow 0
		.amdhsa_exception_fp_ieee_underflow 0
		.amdhsa_exception_fp_ieee_inexact 0
		.amdhsa_exception_int_div_zero 0
	.end_amdhsa_kernel
	.section	.text._Z32kernel_cg_group_partition_staticILj2EEvPibS0_,"axG",@progbits,_Z32kernel_cg_group_partition_staticILj2EEvPibS0_,comdat
.Lfunc_end2:
	.size	_Z32kernel_cg_group_partition_staticILj2EEvPibS0_, .Lfunc_end2-_Z32kernel_cg_group_partition_staticILj2EEvPibS0_
                                        ; -- End function
	.set _Z32kernel_cg_group_partition_staticILj2EEvPibS0_.num_vgpr, 35
	.set _Z32kernel_cg_group_partition_staticILj2EEvPibS0_.num_agpr, 0
	.set _Z32kernel_cg_group_partition_staticILj2EEvPibS0_.numbered_sgpr, 30
	.set _Z32kernel_cg_group_partition_staticILj2EEvPibS0_.num_named_barrier, 0
	.set _Z32kernel_cg_group_partition_staticILj2EEvPibS0_.private_seg_size, 0
	.set _Z32kernel_cg_group_partition_staticILj2EEvPibS0_.uses_vcc, 1
	.set _Z32kernel_cg_group_partition_staticILj2EEvPibS0_.uses_flat_scratch, 0
	.set _Z32kernel_cg_group_partition_staticILj2EEvPibS0_.has_dyn_sized_stack, 0
	.set _Z32kernel_cg_group_partition_staticILj2EEvPibS0_.has_recursion, 0
	.set _Z32kernel_cg_group_partition_staticILj2EEvPibS0_.has_indirect_call, 0
	.section	.AMDGPU.csdata,"",@progbits
; Kernel info:
; codeLenInByte = 24824
; TotalNumSgprs: 34
; NumVgprs: 35
; ScratchSize: 0
; MemoryBound: 0
; FloatMode: 240
; IeeeMode: 1
; LDSByteSize: 0 bytes/workgroup (compile time only)
; SGPRBlocks: 4
; VGPRBlocks: 8
; NumSGPRsForWavesPerEU: 34
; NumVGPRsForWavesPerEU: 35
; Occupancy: 7
; WaveLimiterHint : 1
; COMPUTE_PGM_RSRC2:SCRATCH_EN: 0
; COMPUTE_PGM_RSRC2:USER_SGPR: 6
; COMPUTE_PGM_RSRC2:TRAP_HANDLER: 0
; COMPUTE_PGM_RSRC2:TGID_X_EN: 1
; COMPUTE_PGM_RSRC2:TGID_Y_EN: 0
; COMPUTE_PGM_RSRC2:TGID_Z_EN: 0
; COMPUTE_PGM_RSRC2:TIDIG_COMP_CNT: 2
	.section	.text._Z32kernel_cg_group_partition_staticILj4EEvPibS0_,"axG",@progbits,_Z32kernel_cg_group_partition_staticILj4EEvPibS0_,comdat
	.protected	_Z32kernel_cg_group_partition_staticILj4EEvPibS0_ ; -- Begin function _Z32kernel_cg_group_partition_staticILj4EEvPibS0_
	.globl	_Z32kernel_cg_group_partition_staticILj4EEvPibS0_
	.p2align	8
	.type	_Z32kernel_cg_group_partition_staticILj4EEvPibS0_,@function
_Z32kernel_cg_group_partition_staticILj4EEvPibS0_: ; @_Z32kernel_cg_group_partition_staticILj4EEvPibS0_
; %bb.0:
	s_mov_b64 s[2:3], src_shared_base
	s_load_dword s2, s[4:5], 0x8
	s_load_dwordx2 s[0:1], s[4:5], 0x24
	s_load_dwordx2 s[8:9], s[4:5], 0x10
	s_waitcnt lgkmcnt(0)
	s_and_b32 s2, 1, s2
	s_add_u32 s6, s4, 24
	s_addc_u32 s7, s5, 0
	s_and_b32 s10, s1, 0xffff
	s_lshr_b32 s11, s0, 16
	s_and_b32 s0, s0, 0xffff
	s_cmp_lg_u32 0, -1
	v_mad_u32_u24 v1, v2, s11, v1
	s_cselect_b32 s12, 0, 0
	s_cselect_b32 s13, s3, 0
	s_cmp_eq_u32 s2, 1
	v_mad_u64_u32 v[26:27], s[2:3], v1, s0, v[0:1]
	s_mul_i32 s26, s11, s0
	s_mul_i32 s26, s26, s10
	s_mov_b32 s1, 0
	s_cselect_b32 s27, s9, s13
	s_cselect_b32 s28, s8, s12
	v_mov_b32_e32 v31, v26
	s_cmp_lt_u32 s26, 2
	v_mov_b32_e32 v34, v26
	s_cbranch_scc1 .LBB3_6
; %bb.1:
	v_ashrrev_i32_e32 v27, 31, v26
	v_lshlrev_b64 v[0:1], 2, v[26:27]
	v_mov_b32_e32 v2, s27
	v_add_co_u32_e32 v0, vcc, s28, v0
	v_addc_co_u32_e32 v1, vcc, v2, v1, vcc
	s_mov_b32 s8, s26
	v_mov_b32_e32 v34, v31
.LBB3_2:                                ; =>This Inner Loop Header: Depth=1
	s_lshr_b32 s0, s8, 1
	v_cmp_gt_i32_e32 vcc, s0, v26
	flat_store_dword v[0:1], v34
	s_waitcnt vmcnt(0) lgkmcnt(0)
	s_barrier
	s_and_saveexec_b64 s[2:3], vcc
	s_cbranch_execz .LBB3_4
; %bb.3:                                ;   in Loop: Header=BB3_2 Depth=1
	s_lshl_b64 s[10:11], s[0:1], 2
	v_mov_b32_e32 v3, s11
	v_add_co_u32_e32 v2, vcc, s10, v0
	v_addc_co_u32_e32 v3, vcc, v1, v3, vcc
	flat_load_dword v2, v[2:3]
	s_waitcnt vmcnt(0) lgkmcnt(0)
	v_add_u32_e32 v34, v2, v34
.LBB3_4:                                ;   in Loop: Header=BB3_2 Depth=1
	s_or_b64 exec, exec, s[2:3]
	s_cmp_gt_u32 s8, 3
	s_barrier
	s_cbranch_scc0 .LBB3_6
; %bb.5:                                ;   in Loop: Header=BB3_2 Depth=1
	s_mov_b32 s8, s0
	s_branch .LBB3_2
.LBB3_6:
	v_cmp_eq_u32_e64 s[0:1], 0, v26
	s_and_saveexec_b64 s[8:9], s[0:1]
	s_cbranch_execz .LBB3_408
; %bb.7:
	s_load_dwordx2 s[10:11], s[6:7], 0x50
	v_mbcnt_lo_u32_b32 v0, -1, 0
	v_mbcnt_hi_u32_b32 v33, -1, v0
	v_readfirstlane_b32 s2, v33
	v_mov_b32_e32 v5, 0
	v_mov_b32_e32 v6, 0
	v_cmp_eq_u32_e64 s[2:3], s2, v33
	s_and_saveexec_b64 s[12:13], s[2:3]
	s_cbranch_execz .LBB3_13
; %bb.8:
	v_mov_b32_e32 v0, 0
	s_waitcnt lgkmcnt(0)
	global_load_dwordx2 v[3:4], v0, s[10:11] offset:24 glc
	s_waitcnt vmcnt(0)
	buffer_wbinvl1_vol
	global_load_dwordx2 v[1:2], v0, s[10:11] offset:40
	global_load_dwordx2 v[5:6], v0, s[10:11]
	s_waitcnt vmcnt(1)
	v_and_b32_e32 v1, v1, v3
	v_and_b32_e32 v2, v2, v4
	v_mul_lo_u32 v2, v2, 24
	v_mul_hi_u32 v7, v1, 24
	v_mul_lo_u32 v1, v1, 24
	v_add_u32_e32 v2, v7, v2
	s_waitcnt vmcnt(0)
	v_add_co_u32_e32 v1, vcc, v5, v1
	v_addc_co_u32_e32 v2, vcc, v6, v2, vcc
	global_load_dwordx2 v[1:2], v[1:2], off glc
	s_waitcnt vmcnt(0)
	global_atomic_cmpswap_x2 v[5:6], v0, v[1:4], s[10:11] offset:24 glc
	s_waitcnt vmcnt(0)
	buffer_wbinvl1_vol
	v_cmp_ne_u64_e32 vcc, v[5:6], v[3:4]
	s_and_saveexec_b64 s[14:15], vcc
	s_cbranch_execz .LBB3_12
; %bb.9:
	s_mov_b64 s[16:17], 0
.LBB3_10:                               ; =>This Inner Loop Header: Depth=1
	s_sleep 1
	global_load_dwordx2 v[1:2], v0, s[10:11] offset:40
	global_load_dwordx2 v[7:8], v0, s[10:11]
	v_mov_b32_e32 v3, v5
	v_mov_b32_e32 v4, v6
	s_waitcnt vmcnt(1)
	v_and_b32_e32 v1, v1, v3
	s_waitcnt vmcnt(0)
	v_mad_u64_u32 v[5:6], s[18:19], v1, 24, v[7:8]
	v_and_b32_e32 v2, v2, v4
	v_mov_b32_e32 v1, v6
	v_mad_u64_u32 v[1:2], s[18:19], v2, 24, v[1:2]
	v_mov_b32_e32 v6, v1
	global_load_dwordx2 v[1:2], v[5:6], off glc
	s_waitcnt vmcnt(0)
	global_atomic_cmpswap_x2 v[5:6], v0, v[1:4], s[10:11] offset:24 glc
	s_waitcnt vmcnt(0)
	buffer_wbinvl1_vol
	v_cmp_eq_u64_e32 vcc, v[5:6], v[3:4]
	s_or_b64 s[16:17], vcc, s[16:17]
	s_andn2_b64 exec, exec, s[16:17]
	s_cbranch_execnz .LBB3_10
; %bb.11:
	s_or_b64 exec, exec, s[16:17]
.LBB3_12:
	s_or_b64 exec, exec, s[14:15]
.LBB3_13:
	s_or_b64 exec, exec, s[12:13]
	v_mov_b32_e32 v4, 0
	s_waitcnt lgkmcnt(0)
	global_load_dwordx2 v[7:8], v4, s[10:11] offset:40
	global_load_dwordx4 v[0:3], v4, s[10:11]
	v_readfirstlane_b32 s13, v6
	v_readfirstlane_b32 s12, v5
	s_mov_b64 s[14:15], exec
	s_waitcnt vmcnt(1)
	v_readfirstlane_b32 s16, v7
	v_readfirstlane_b32 s17, v8
	s_and_b64 s[16:17], s[16:17], s[12:13]
	s_mul_i32 s18, s17, 24
	s_mul_hi_u32 s19, s16, 24
	s_mul_i32 s20, s16, 24
	s_add_i32 s18, s19, s18
	v_mov_b32_e32 v5, s18
	s_waitcnt vmcnt(0)
	v_add_co_u32_e32 v7, vcc, s20, v0
	v_addc_co_u32_e32 v8, vcc, v1, v5, vcc
	s_and_saveexec_b64 s[18:19], s[2:3]
	s_cbranch_execz .LBB3_15
; %bb.14:
	v_mov_b32_e32 v9, s14
	v_mov_b32_e32 v10, s15
	v_mov_b32_e32 v11, 2
	v_mov_b32_e32 v12, 1
	global_store_dwordx4 v[7:8], v[9:12], off offset:8
.LBB3_15:
	s_or_b64 exec, exec, s[18:19]
	s_lshl_b64 s[14:15], s[16:17], 12
	v_mov_b32_e32 v5, s15
	v_add_co_u32_e32 v2, vcc, s14, v2
	v_addc_co_u32_e32 v11, vcc, v3, v5, vcc
	v_lshlrev_b32_e32 v32, 6, v33
	s_mov_b32 s16, 0
	v_mov_b32_e32 v3, 33
	v_mov_b32_e32 v5, v4
	;; [unrolled: 1-line block ×3, first 2 shown]
	v_readfirstlane_b32 s14, v2
	v_readfirstlane_b32 s15, v11
	v_add_co_u32_e32 v9, vcc, v2, v32
	s_mov_b32 s17, s16
	s_mov_b32 s18, s16
	;; [unrolled: 1-line block ×3, first 2 shown]
	s_nop 0
	global_store_dwordx4 v32, v[3:6], s[14:15]
	v_mov_b32_e32 v2, s16
	v_addc_co_u32_e32 v10, vcc, 0, v11, vcc
	v_mov_b32_e32 v3, s17
	v_mov_b32_e32 v4, s18
	v_mov_b32_e32 v5, s19
	global_store_dwordx4 v32, v[2:5], s[14:15] offset:16
	global_store_dwordx4 v32, v[2:5], s[14:15] offset:32
	;; [unrolled: 1-line block ×3, first 2 shown]
	s_and_saveexec_b64 s[14:15], s[2:3]
	s_cbranch_execz .LBB3_23
; %bb.16:
	v_mov_b32_e32 v6, 0
	global_load_dwordx2 v[13:14], v6, s[10:11] offset:32 glc
	global_load_dwordx2 v[2:3], v6, s[10:11] offset:40
	v_mov_b32_e32 v11, s12
	v_mov_b32_e32 v12, s13
	s_waitcnt vmcnt(0)
	v_and_b32_e32 v2, s12, v2
	v_and_b32_e32 v3, s13, v3
	v_mul_lo_u32 v3, v3, 24
	v_mul_hi_u32 v4, v2, 24
	v_mul_lo_u32 v2, v2, 24
	v_add_u32_e32 v3, v4, v3
	v_add_co_u32_e32 v4, vcc, v0, v2
	v_addc_co_u32_e32 v5, vcc, v1, v3, vcc
	global_store_dwordx2 v[4:5], v[13:14], off
	s_waitcnt vmcnt(0)
	global_atomic_cmpswap_x2 v[2:3], v6, v[11:14], s[10:11] offset:32 glc
	s_waitcnt vmcnt(0)
	v_cmp_ne_u64_e32 vcc, v[2:3], v[13:14]
	s_and_saveexec_b64 s[16:17], vcc
	s_cbranch_execz .LBB3_19
; %bb.17:
	s_mov_b64 s[18:19], 0
.LBB3_18:                               ; =>This Inner Loop Header: Depth=1
	s_sleep 1
	global_store_dwordx2 v[4:5], v[2:3], off
	v_mov_b32_e32 v0, s12
	v_mov_b32_e32 v1, s13
	s_waitcnt vmcnt(0)
	global_atomic_cmpswap_x2 v[0:1], v6, v[0:3], s[10:11] offset:32 glc
	s_waitcnt vmcnt(0)
	v_cmp_eq_u64_e32 vcc, v[0:1], v[2:3]
	v_mov_b32_e32 v3, v1
	s_or_b64 s[18:19], vcc, s[18:19]
	v_mov_b32_e32 v2, v0
	s_andn2_b64 exec, exec, s[18:19]
	s_cbranch_execnz .LBB3_18
.LBB3_19:
	s_or_b64 exec, exec, s[16:17]
	v_mov_b32_e32 v3, 0
	global_load_dwordx2 v[0:1], v3, s[10:11] offset:16
	s_mov_b64 s[16:17], exec
	v_mbcnt_lo_u32_b32 v2, s16, 0
	v_mbcnt_hi_u32_b32 v2, s17, v2
	v_cmp_eq_u32_e32 vcc, 0, v2
	s_and_saveexec_b64 s[18:19], vcc
	s_cbranch_execz .LBB3_21
; %bb.20:
	s_bcnt1_i32_b64 s16, s[16:17]
	v_mov_b32_e32 v2, s16
	s_waitcnt vmcnt(0)
	global_atomic_add_x2 v[0:1], v[2:3], off offset:8
.LBB3_21:
	s_or_b64 exec, exec, s[18:19]
	s_waitcnt vmcnt(0)
	global_load_dwordx2 v[2:3], v[0:1], off offset:16
	s_waitcnt vmcnt(0)
	v_cmp_eq_u64_e32 vcc, 0, v[2:3]
	s_cbranch_vccnz .LBB3_23
; %bb.22:
	global_load_dword v0, v[0:1], off offset:24
	v_mov_b32_e32 v1, 0
	s_waitcnt vmcnt(0)
	v_readfirstlane_b32 s16, v0
	s_and_b32 m0, s16, 0xffffff
	global_store_dwordx2 v[2:3], v[0:1], off
	s_sendmsg sendmsg(MSG_INTERRUPT)
.LBB3_23:
	s_or_b64 exec, exec, s[14:15]
	s_branch .LBB3_27
.LBB3_24:                               ;   in Loop: Header=BB3_27 Depth=1
	s_or_b64 exec, exec, s[14:15]
	v_readfirstlane_b32 s14, v0
	s_cmp_eq_u32 s14, 0
	s_cbranch_scc1 .LBB3_26
; %bb.25:                               ;   in Loop: Header=BB3_27 Depth=1
	s_sleep 1
	s_cbranch_execnz .LBB3_27
	s_branch .LBB3_29
.LBB3_26:
	s_branch .LBB3_29
.LBB3_27:                               ; =>This Inner Loop Header: Depth=1
	v_mov_b32_e32 v0, 1
	s_and_saveexec_b64 s[14:15], s[2:3]
	s_cbranch_execz .LBB3_24
; %bb.28:                               ;   in Loop: Header=BB3_27 Depth=1
	global_load_dword v0, v[7:8], off offset:20 glc
	s_waitcnt vmcnt(0)
	buffer_wbinvl1_vol
	v_and_b32_e32 v0, 1, v0
	s_branch .LBB3_24
.LBB3_29:
	global_load_dwordx2 v[0:1], v[9:10], off
	s_and_saveexec_b64 s[14:15], s[2:3]
	s_cbranch_execz .LBB3_32
; %bb.30:
	v_mov_b32_e32 v8, 0
	global_load_dwordx2 v[2:3], v8, s[10:11] offset:40
	global_load_dwordx2 v[11:12], v8, s[10:11] offset:24 glc
	global_load_dwordx2 v[4:5], v8, s[10:11]
	s_waitcnt vmcnt(2)
	v_readfirstlane_b32 s16, v2
	v_readfirstlane_b32 s17, v3
	s_add_u32 s18, s16, 1
	s_addc_u32 s19, s17, 0
	s_add_u32 s2, s18, s12
	s_addc_u32 s3, s19, s13
	s_cmp_eq_u64 s[2:3], 0
	s_cselect_b32 s3, s19, s3
	s_cselect_b32 s2, s18, s2
	s_and_b64 s[12:13], s[2:3], s[16:17]
	s_mul_i32 s13, s13, 24
	s_mul_hi_u32 s16, s12, 24
	s_mul_i32 s12, s12, 24
	s_add_i32 s13, s16, s13
	v_mov_b32_e32 v2, s13
	s_waitcnt vmcnt(0)
	v_add_co_u32_e32 v6, vcc, s12, v4
	v_addc_co_u32_e32 v7, vcc, v5, v2, vcc
	v_mov_b32_e32 v9, s2
	global_store_dwordx2 v[6:7], v[11:12], off
	v_mov_b32_e32 v10, s3
	s_waitcnt vmcnt(0)
	global_atomic_cmpswap_x2 v[4:5], v8, v[9:12], s[10:11] offset:24 glc
	s_mov_b64 s[12:13], 0
	s_waitcnt vmcnt(0)
	v_cmp_ne_u64_e32 vcc, v[4:5], v[11:12]
	s_and_b64 exec, exec, vcc
	s_cbranch_execz .LBB3_32
.LBB3_31:                               ; =>This Inner Loop Header: Depth=1
	s_sleep 1
	global_store_dwordx2 v[6:7], v[4:5], off
	v_mov_b32_e32 v2, s2
	v_mov_b32_e32 v3, s3
	s_waitcnt vmcnt(0)
	global_atomic_cmpswap_x2 v[2:3], v8, v[2:5], s[10:11] offset:24 glc
	s_waitcnt vmcnt(0)
	v_cmp_eq_u64_e32 vcc, v[2:3], v[4:5]
	v_mov_b32_e32 v5, v3
	s_or_b64 s[12:13], vcc, s[12:13]
	v_mov_b32_e32 v4, v2
	s_andn2_b64 exec, exec, s[12:13]
	s_cbranch_execnz .LBB3_31
.LBB3_32:
	s_or_b64 exec, exec, s[14:15]
	s_getpc_b64 s[12:13]
	s_add_u32 s12, s12, .str.8@rel32@lo+4
	s_addc_u32 s13, s13, .str.8@rel32@hi+12
	s_cmp_lg_u64 s[12:13], 0
	s_cbranch_scc0 .LBB3_118
; %bb.33:
	s_waitcnt vmcnt(0)
	v_and_b32_e32 v35, 2, v0
	v_mov_b32_e32 v28, 0
	v_and_b32_e32 v2, -3, v0
	v_mov_b32_e32 v3, v1
	s_mov_b64 s[14:15], 0x4d
	v_mov_b32_e32 v8, 2
	v_mov_b32_e32 v9, 1
	s_branch .LBB3_35
.LBB3_34:                               ;   in Loop: Header=BB3_35 Depth=1
	s_or_b64 exec, exec, s[20:21]
	s_sub_u32 s14, s14, s16
	s_subb_u32 s15, s15, s17
	s_add_u32 s12, s12, s16
	s_addc_u32 s13, s13, s17
	s_cmp_lg_u64 s[14:15], 0
	s_cbranch_scc0 .LBB3_117
.LBB3_35:                               ; =>This Loop Header: Depth=1
                                        ;     Child Loop BB3_38 Depth 2
                                        ;     Child Loop BB3_46 Depth 2
	;; [unrolled: 1-line block ×11, first 2 shown]
	v_cmp_lt_u64_e64 s[2:3], s[14:15], 56
	v_cmp_gt_u64_e64 s[18:19], s[14:15], 7
	s_and_b64 s[2:3], s[2:3], exec
	s_cselect_b32 s17, s15, 0
	s_cselect_b32 s16, s14, 56
	s_add_u32 s2, s12, 8
	s_addc_u32 s3, s13, 0
	s_and_b64 vcc, exec, s[18:19]
	s_cbranch_vccnz .LBB3_39
; %bb.36:                               ;   in Loop: Header=BB3_35 Depth=1
	s_cmp_eq_u64 s[14:15], 0
	s_cbranch_scc1 .LBB3_40
; %bb.37:                               ;   in Loop: Header=BB3_35 Depth=1
	v_mov_b32_e32 v4, 0
	s_lshl_b64 s[2:3], s[16:17], 3
	s_mov_b64 s[18:19], 0
	v_mov_b32_e32 v5, 0
	s_mov_b64 s[20:21], s[12:13]
.LBB3_38:                               ;   Parent Loop BB3_35 Depth=1
                                        ; =>  This Inner Loop Header: Depth=2
	global_load_ubyte v6, v28, s[20:21]
	s_waitcnt vmcnt(0)
	v_and_b32_e32 v27, 0xffff, v6
	v_lshlrev_b64 v[6:7], s18, v[27:28]
	s_add_u32 s18, s18, 8
	s_addc_u32 s19, s19, 0
	s_add_u32 s20, s20, 1
	s_addc_u32 s21, s21, 0
	v_or_b32_e32 v4, v6, v4
	s_cmp_lg_u32 s2, s18
	v_or_b32_e32 v5, v7, v5
	s_cbranch_scc1 .LBB3_38
	s_branch .LBB3_41
.LBB3_39:                               ;   in Loop: Header=BB3_35 Depth=1
	s_mov_b32 s22, 0
	s_branch .LBB3_42
.LBB3_40:                               ;   in Loop: Header=BB3_35 Depth=1
	v_mov_b32_e32 v4, 0
	v_mov_b32_e32 v5, 0
.LBB3_41:                               ;   in Loop: Header=BB3_35 Depth=1
	s_mov_b64 s[2:3], s[12:13]
	s_mov_b32 s22, 0
	s_cbranch_execnz .LBB3_43
.LBB3_42:                               ;   in Loop: Header=BB3_35 Depth=1
	global_load_dwordx2 v[4:5], v28, s[12:13]
	s_add_i32 s22, s16, -8
.LBB3_43:                               ;   in Loop: Header=BB3_35 Depth=1
	s_add_u32 s18, s2, 8
	s_addc_u32 s19, s3, 0
	s_cmp_gt_u32 s22, 7
	s_cbranch_scc1 .LBB3_47
; %bb.44:                               ;   in Loop: Header=BB3_35 Depth=1
	s_cmp_eq_u32 s22, 0
	s_cbranch_scc1 .LBB3_48
; %bb.45:                               ;   in Loop: Header=BB3_35 Depth=1
	v_mov_b32_e32 v10, 0
	s_mov_b64 s[18:19], 0
	v_mov_b32_e32 v11, 0
	s_mov_b64 s[20:21], 0
.LBB3_46:                               ;   Parent Loop BB3_35 Depth=1
                                        ; =>  This Inner Loop Header: Depth=2
	s_add_u32 s24, s2, s20
	s_addc_u32 s25, s3, s21
	global_load_ubyte v6, v28, s[24:25]
	s_add_u32 s20, s20, 1
	s_addc_u32 s21, s21, 0
	s_waitcnt vmcnt(0)
	v_and_b32_e32 v27, 0xffff, v6
	v_lshlrev_b64 v[6:7], s18, v[27:28]
	s_add_u32 s18, s18, 8
	s_addc_u32 s19, s19, 0
	v_or_b32_e32 v10, v6, v10
	s_cmp_lg_u32 s22, s20
	v_or_b32_e32 v11, v7, v11
	s_cbranch_scc1 .LBB3_46
	s_branch .LBB3_49
.LBB3_47:                               ;   in Loop: Header=BB3_35 Depth=1
                                        ; implicit-def: $vgpr10_vgpr11
	s_mov_b32 s23, 0
	s_branch .LBB3_50
.LBB3_48:                               ;   in Loop: Header=BB3_35 Depth=1
	v_mov_b32_e32 v10, 0
	v_mov_b32_e32 v11, 0
.LBB3_49:                               ;   in Loop: Header=BB3_35 Depth=1
	s_mov_b64 s[18:19], s[2:3]
	s_mov_b32 s23, 0
	s_cbranch_execnz .LBB3_51
.LBB3_50:                               ;   in Loop: Header=BB3_35 Depth=1
	global_load_dwordx2 v[10:11], v28, s[2:3]
	s_add_i32 s23, s22, -8
.LBB3_51:                               ;   in Loop: Header=BB3_35 Depth=1
	s_add_u32 s2, s18, 8
	s_addc_u32 s3, s19, 0
	s_cmp_gt_u32 s23, 7
	s_cbranch_scc1 .LBB3_55
; %bb.52:                               ;   in Loop: Header=BB3_35 Depth=1
	s_cmp_eq_u32 s23, 0
	s_cbranch_scc1 .LBB3_56
; %bb.53:                               ;   in Loop: Header=BB3_35 Depth=1
	v_mov_b32_e32 v12, 0
	s_mov_b64 s[2:3], 0
	v_mov_b32_e32 v13, 0
	s_mov_b64 s[20:21], 0
.LBB3_54:                               ;   Parent Loop BB3_35 Depth=1
                                        ; =>  This Inner Loop Header: Depth=2
	s_add_u32 s24, s18, s20
	s_addc_u32 s25, s19, s21
	global_load_ubyte v6, v28, s[24:25]
	s_add_u32 s20, s20, 1
	s_addc_u32 s21, s21, 0
	s_waitcnt vmcnt(0)
	v_and_b32_e32 v27, 0xffff, v6
	v_lshlrev_b64 v[6:7], s2, v[27:28]
	s_add_u32 s2, s2, 8
	s_addc_u32 s3, s3, 0
	v_or_b32_e32 v12, v6, v12
	s_cmp_lg_u32 s23, s20
	v_or_b32_e32 v13, v7, v13
	s_cbranch_scc1 .LBB3_54
	s_branch .LBB3_57
.LBB3_55:                               ;   in Loop: Header=BB3_35 Depth=1
	s_mov_b32 s22, 0
	s_branch .LBB3_58
.LBB3_56:                               ;   in Loop: Header=BB3_35 Depth=1
	v_mov_b32_e32 v12, 0
	v_mov_b32_e32 v13, 0
.LBB3_57:                               ;   in Loop: Header=BB3_35 Depth=1
	s_mov_b64 s[2:3], s[18:19]
	s_mov_b32 s22, 0
	s_cbranch_execnz .LBB3_59
.LBB3_58:                               ;   in Loop: Header=BB3_35 Depth=1
	global_load_dwordx2 v[12:13], v28, s[18:19]
	s_add_i32 s22, s23, -8
.LBB3_59:                               ;   in Loop: Header=BB3_35 Depth=1
	s_add_u32 s18, s2, 8
	s_addc_u32 s19, s3, 0
	s_cmp_gt_u32 s22, 7
	s_cbranch_scc1 .LBB3_63
; %bb.60:                               ;   in Loop: Header=BB3_35 Depth=1
	s_cmp_eq_u32 s22, 0
	s_cbranch_scc1 .LBB3_64
; %bb.61:                               ;   in Loop: Header=BB3_35 Depth=1
	v_mov_b32_e32 v14, 0
	s_mov_b64 s[18:19], 0
	v_mov_b32_e32 v15, 0
	s_mov_b64 s[20:21], 0
.LBB3_62:                               ;   Parent Loop BB3_35 Depth=1
                                        ; =>  This Inner Loop Header: Depth=2
	s_add_u32 s24, s2, s20
	s_addc_u32 s25, s3, s21
	global_load_ubyte v6, v28, s[24:25]
	s_add_u32 s20, s20, 1
	s_addc_u32 s21, s21, 0
	s_waitcnt vmcnt(0)
	v_and_b32_e32 v27, 0xffff, v6
	v_lshlrev_b64 v[6:7], s18, v[27:28]
	s_add_u32 s18, s18, 8
	s_addc_u32 s19, s19, 0
	v_or_b32_e32 v14, v6, v14
	s_cmp_lg_u32 s22, s20
	v_or_b32_e32 v15, v7, v15
	s_cbranch_scc1 .LBB3_62
	s_branch .LBB3_65
.LBB3_63:                               ;   in Loop: Header=BB3_35 Depth=1
                                        ; implicit-def: $vgpr14_vgpr15
	s_mov_b32 s23, 0
	s_branch .LBB3_66
.LBB3_64:                               ;   in Loop: Header=BB3_35 Depth=1
	v_mov_b32_e32 v14, 0
	v_mov_b32_e32 v15, 0
.LBB3_65:                               ;   in Loop: Header=BB3_35 Depth=1
	s_mov_b64 s[18:19], s[2:3]
	s_mov_b32 s23, 0
	s_cbranch_execnz .LBB3_67
.LBB3_66:                               ;   in Loop: Header=BB3_35 Depth=1
	global_load_dwordx2 v[14:15], v28, s[2:3]
	s_add_i32 s23, s22, -8
.LBB3_67:                               ;   in Loop: Header=BB3_35 Depth=1
	s_add_u32 s2, s18, 8
	s_addc_u32 s3, s19, 0
	s_cmp_gt_u32 s23, 7
	s_cbranch_scc1 .LBB3_71
; %bb.68:                               ;   in Loop: Header=BB3_35 Depth=1
	s_cmp_eq_u32 s23, 0
	s_cbranch_scc1 .LBB3_72
; %bb.69:                               ;   in Loop: Header=BB3_35 Depth=1
	v_mov_b32_e32 v16, 0
	s_mov_b64 s[2:3], 0
	v_mov_b32_e32 v17, 0
	s_mov_b64 s[20:21], 0
.LBB3_70:                               ;   Parent Loop BB3_35 Depth=1
                                        ; =>  This Inner Loop Header: Depth=2
	s_add_u32 s24, s18, s20
	s_addc_u32 s25, s19, s21
	global_load_ubyte v6, v28, s[24:25]
	s_add_u32 s20, s20, 1
	s_addc_u32 s21, s21, 0
	s_waitcnt vmcnt(0)
	v_and_b32_e32 v27, 0xffff, v6
	v_lshlrev_b64 v[6:7], s2, v[27:28]
	s_add_u32 s2, s2, 8
	s_addc_u32 s3, s3, 0
	v_or_b32_e32 v16, v6, v16
	s_cmp_lg_u32 s23, s20
	v_or_b32_e32 v17, v7, v17
	s_cbranch_scc1 .LBB3_70
	s_branch .LBB3_73
.LBB3_71:                               ;   in Loop: Header=BB3_35 Depth=1
	s_mov_b32 s22, 0
	s_branch .LBB3_74
.LBB3_72:                               ;   in Loop: Header=BB3_35 Depth=1
	v_mov_b32_e32 v16, 0
	v_mov_b32_e32 v17, 0
.LBB3_73:                               ;   in Loop: Header=BB3_35 Depth=1
	s_mov_b64 s[2:3], s[18:19]
	s_mov_b32 s22, 0
	s_cbranch_execnz .LBB3_75
.LBB3_74:                               ;   in Loop: Header=BB3_35 Depth=1
	global_load_dwordx2 v[16:17], v28, s[18:19]
	s_add_i32 s22, s23, -8
.LBB3_75:                               ;   in Loop: Header=BB3_35 Depth=1
	s_add_u32 s18, s2, 8
	s_addc_u32 s19, s3, 0
	s_cmp_gt_u32 s22, 7
	s_cbranch_scc1 .LBB3_79
; %bb.76:                               ;   in Loop: Header=BB3_35 Depth=1
	s_cmp_eq_u32 s22, 0
	s_cbranch_scc1 .LBB3_80
; %bb.77:                               ;   in Loop: Header=BB3_35 Depth=1
	v_mov_b32_e32 v18, 0
	s_mov_b64 s[18:19], 0
	v_mov_b32_e32 v19, 0
	s_mov_b64 s[20:21], 0
.LBB3_78:                               ;   Parent Loop BB3_35 Depth=1
                                        ; =>  This Inner Loop Header: Depth=2
	s_add_u32 s24, s2, s20
	s_addc_u32 s25, s3, s21
	global_load_ubyte v6, v28, s[24:25]
	s_add_u32 s20, s20, 1
	s_addc_u32 s21, s21, 0
	s_waitcnt vmcnt(0)
	v_and_b32_e32 v27, 0xffff, v6
	v_lshlrev_b64 v[6:7], s18, v[27:28]
	s_add_u32 s18, s18, 8
	s_addc_u32 s19, s19, 0
	v_or_b32_e32 v18, v6, v18
	s_cmp_lg_u32 s22, s20
	v_or_b32_e32 v19, v7, v19
	s_cbranch_scc1 .LBB3_78
	s_branch .LBB3_81
.LBB3_79:                               ;   in Loop: Header=BB3_35 Depth=1
                                        ; implicit-def: $vgpr18_vgpr19
	s_mov_b32 s23, 0
	s_branch .LBB3_82
.LBB3_80:                               ;   in Loop: Header=BB3_35 Depth=1
	v_mov_b32_e32 v18, 0
	v_mov_b32_e32 v19, 0
.LBB3_81:                               ;   in Loop: Header=BB3_35 Depth=1
	s_mov_b64 s[18:19], s[2:3]
	s_mov_b32 s23, 0
	s_cbranch_execnz .LBB3_83
.LBB3_82:                               ;   in Loop: Header=BB3_35 Depth=1
	global_load_dwordx2 v[18:19], v28, s[2:3]
	s_add_i32 s23, s22, -8
.LBB3_83:                               ;   in Loop: Header=BB3_35 Depth=1
	s_cmp_gt_u32 s23, 7
	s_cbranch_scc1 .LBB3_87
; %bb.84:                               ;   in Loop: Header=BB3_35 Depth=1
	s_cmp_eq_u32 s23, 0
	s_cbranch_scc1 .LBB3_88
; %bb.85:                               ;   in Loop: Header=BB3_35 Depth=1
	v_mov_b32_e32 v20, 0
	s_mov_b64 s[2:3], 0
	v_mov_b32_e32 v21, 0
	s_mov_b64 s[20:21], s[18:19]
.LBB3_86:                               ;   Parent Loop BB3_35 Depth=1
                                        ; =>  This Inner Loop Header: Depth=2
	global_load_ubyte v6, v28, s[20:21]
	s_add_i32 s23, s23, -1
	s_waitcnt vmcnt(0)
	v_and_b32_e32 v27, 0xffff, v6
	v_lshlrev_b64 v[6:7], s2, v[27:28]
	s_add_u32 s2, s2, 8
	s_addc_u32 s3, s3, 0
	s_add_u32 s20, s20, 1
	s_addc_u32 s21, s21, 0
	v_or_b32_e32 v20, v6, v20
	s_cmp_lg_u32 s23, 0
	v_or_b32_e32 v21, v7, v21
	s_cbranch_scc1 .LBB3_86
	s_branch .LBB3_89
.LBB3_87:                               ;   in Loop: Header=BB3_35 Depth=1
	s_branch .LBB3_90
.LBB3_88:                               ;   in Loop: Header=BB3_35 Depth=1
	v_mov_b32_e32 v20, 0
	v_mov_b32_e32 v21, 0
.LBB3_89:                               ;   in Loop: Header=BB3_35 Depth=1
	s_cbranch_execnz .LBB3_91
.LBB3_90:                               ;   in Loop: Header=BB3_35 Depth=1
	global_load_dwordx2 v[20:21], v28, s[18:19]
.LBB3_91:                               ;   in Loop: Header=BB3_35 Depth=1
	v_readfirstlane_b32 s2, v33
	v_mov_b32_e32 v6, 0
	v_mov_b32_e32 v7, 0
	v_cmp_eq_u32_e64 s[2:3], s2, v33
	s_and_saveexec_b64 s[18:19], s[2:3]
	s_cbranch_execz .LBB3_97
; %bb.92:                               ;   in Loop: Header=BB3_35 Depth=1
	global_load_dwordx2 v[24:25], v28, s[10:11] offset:24 glc
	s_waitcnt vmcnt(0)
	buffer_wbinvl1_vol
	global_load_dwordx2 v[6:7], v28, s[10:11] offset:40
	global_load_dwordx2 v[22:23], v28, s[10:11]
	s_waitcnt vmcnt(1)
	v_and_b32_e32 v6, v6, v24
	v_and_b32_e32 v7, v7, v25
	v_mul_lo_u32 v7, v7, 24
	v_mul_hi_u32 v27, v6, 24
	v_mul_lo_u32 v6, v6, 24
	v_add_u32_e32 v7, v27, v7
	s_waitcnt vmcnt(0)
	v_add_co_u32_e32 v6, vcc, v22, v6
	v_addc_co_u32_e32 v7, vcc, v23, v7, vcc
	global_load_dwordx2 v[22:23], v[6:7], off glc
	s_waitcnt vmcnt(0)
	global_atomic_cmpswap_x2 v[6:7], v28, v[22:25], s[10:11] offset:24 glc
	s_waitcnt vmcnt(0)
	buffer_wbinvl1_vol
	v_cmp_ne_u64_e32 vcc, v[6:7], v[24:25]
	s_and_saveexec_b64 s[20:21], vcc
	s_cbranch_execz .LBB3_96
; %bb.93:                               ;   in Loop: Header=BB3_35 Depth=1
	s_mov_b64 s[22:23], 0
.LBB3_94:                               ;   Parent Loop BB3_35 Depth=1
                                        ; =>  This Inner Loop Header: Depth=2
	s_sleep 1
	global_load_dwordx2 v[22:23], v28, s[10:11] offset:40
	global_load_dwordx2 v[29:30], v28, s[10:11]
	v_mov_b32_e32 v25, v7
	v_mov_b32_e32 v24, v6
	s_waitcnt vmcnt(1)
	v_and_b32_e32 v6, v22, v24
	s_waitcnt vmcnt(0)
	v_mad_u64_u32 v[6:7], s[24:25], v6, 24, v[29:30]
	v_and_b32_e32 v22, v23, v25
	v_mad_u64_u32 v[22:23], s[24:25], v22, 24, v[7:8]
	v_mov_b32_e32 v7, v22
	global_load_dwordx2 v[22:23], v[6:7], off glc
	s_waitcnt vmcnt(0)
	global_atomic_cmpswap_x2 v[6:7], v28, v[22:25], s[10:11] offset:24 glc
	s_waitcnt vmcnt(0)
	buffer_wbinvl1_vol
	v_cmp_eq_u64_e32 vcc, v[6:7], v[24:25]
	s_or_b64 s[22:23], vcc, s[22:23]
	s_andn2_b64 exec, exec, s[22:23]
	s_cbranch_execnz .LBB3_94
; %bb.95:                               ;   in Loop: Header=BB3_35 Depth=1
	s_or_b64 exec, exec, s[22:23]
.LBB3_96:                               ;   in Loop: Header=BB3_35 Depth=1
	s_or_b64 exec, exec, s[20:21]
.LBB3_97:                               ;   in Loop: Header=BB3_35 Depth=1
	s_or_b64 exec, exec, s[18:19]
	global_load_dwordx2 v[29:30], v28, s[10:11] offset:40
	global_load_dwordx4 v[22:25], v28, s[10:11]
	v_readfirstlane_b32 s19, v7
	v_readfirstlane_b32 s18, v6
	s_mov_b64 s[20:21], exec
	s_waitcnt vmcnt(1)
	v_readfirstlane_b32 s22, v29
	v_readfirstlane_b32 s23, v30
	s_and_b64 s[22:23], s[22:23], s[18:19]
	s_mul_i32 s24, s23, 24
	s_mul_hi_u32 s25, s22, 24
	s_mul_i32 s29, s22, 24
	s_add_i32 s24, s25, s24
	v_mov_b32_e32 v6, s24
	s_waitcnt vmcnt(0)
	v_add_co_u32_e32 v29, vcc, s29, v22
	v_addc_co_u32_e32 v30, vcc, v23, v6, vcc
	s_and_saveexec_b64 s[24:25], s[2:3]
	s_cbranch_execz .LBB3_99
; %bb.98:                               ;   in Loop: Header=BB3_35 Depth=1
	v_mov_b32_e32 v6, s20
	v_mov_b32_e32 v7, s21
	global_store_dwordx4 v[29:30], v[6:9], off offset:8
.LBB3_99:                               ;   in Loop: Header=BB3_35 Depth=1
	s_or_b64 exec, exec, s[24:25]
	s_lshl_b64 s[20:21], s[22:23], 12
	v_mov_b32_e32 v6, s21
	v_add_co_u32_e32 v24, vcc, s20, v24
	v_addc_co_u32_e32 v25, vcc, v25, v6, vcc
	v_cmp_lt_u64_e64 vcc, s[14:15], 57
	s_lshl_b32 s20, s16, 2
	v_cndmask_b32_e32 v6, 0, v35, vcc
	s_add_i32 s20, s20, 28
	v_and_b32_e32 v2, 0xffffff1f, v2
	s_and_b32 s20, s20, 0x1e0
	v_or_b32_e32 v2, v2, v6
	v_or_b32_e32 v2, s20, v2
	v_readfirstlane_b32 s20, v24
	v_readfirstlane_b32 s21, v25
	s_nop 4
	global_store_dwordx4 v32, v[2:5], s[20:21]
	global_store_dwordx4 v32, v[10:13], s[20:21] offset:16
	global_store_dwordx4 v32, v[14:17], s[20:21] offset:32
	;; [unrolled: 1-line block ×3, first 2 shown]
	s_and_saveexec_b64 s[20:21], s[2:3]
	s_cbranch_execz .LBB3_107
; %bb.100:                              ;   in Loop: Header=BB3_35 Depth=1
	global_load_dwordx2 v[12:13], v28, s[10:11] offset:32 glc
	global_load_dwordx2 v[2:3], v28, s[10:11] offset:40
	v_mov_b32_e32 v10, s18
	v_mov_b32_e32 v11, s19
	s_waitcnt vmcnt(0)
	v_readfirstlane_b32 s22, v2
	v_readfirstlane_b32 s23, v3
	s_and_b64 s[22:23], s[22:23], s[18:19]
	s_mul_i32 s23, s23, 24
	s_mul_hi_u32 s24, s22, 24
	s_mul_i32 s22, s22, 24
	s_add_i32 s23, s24, s23
	v_mov_b32_e32 v2, s23
	v_add_co_u32_e32 v6, vcc, s22, v22
	v_addc_co_u32_e32 v7, vcc, v23, v2, vcc
	global_store_dwordx2 v[6:7], v[12:13], off
	s_waitcnt vmcnt(0)
	global_atomic_cmpswap_x2 v[4:5], v28, v[10:13], s[10:11] offset:32 glc
	s_waitcnt vmcnt(0)
	v_cmp_ne_u64_e32 vcc, v[4:5], v[12:13]
	s_and_saveexec_b64 s[22:23], vcc
	s_cbranch_execz .LBB3_103
; %bb.101:                              ;   in Loop: Header=BB3_35 Depth=1
	s_mov_b64 s[24:25], 0
.LBB3_102:                              ;   Parent Loop BB3_35 Depth=1
                                        ; =>  This Inner Loop Header: Depth=2
	s_sleep 1
	global_store_dwordx2 v[6:7], v[4:5], off
	v_mov_b32_e32 v2, s18
	v_mov_b32_e32 v3, s19
	s_waitcnt vmcnt(0)
	global_atomic_cmpswap_x2 v[2:3], v28, v[2:5], s[10:11] offset:32 glc
	s_waitcnt vmcnt(0)
	v_cmp_eq_u64_e32 vcc, v[2:3], v[4:5]
	v_mov_b32_e32 v5, v3
	s_or_b64 s[24:25], vcc, s[24:25]
	v_mov_b32_e32 v4, v2
	s_andn2_b64 exec, exec, s[24:25]
	s_cbranch_execnz .LBB3_102
.LBB3_103:                              ;   in Loop: Header=BB3_35 Depth=1
	s_or_b64 exec, exec, s[22:23]
	global_load_dwordx2 v[2:3], v28, s[10:11] offset:16
	s_mov_b64 s[24:25], exec
	v_mbcnt_lo_u32_b32 v4, s24, 0
	v_mbcnt_hi_u32_b32 v4, s25, v4
	v_cmp_eq_u32_e32 vcc, 0, v4
	s_and_saveexec_b64 s[22:23], vcc
	s_cbranch_execz .LBB3_105
; %bb.104:                              ;   in Loop: Header=BB3_35 Depth=1
	s_bcnt1_i32_b64 s24, s[24:25]
	v_mov_b32_e32 v27, s24
	s_waitcnt vmcnt(0)
	global_atomic_add_x2 v[2:3], v[27:28], off offset:8
.LBB3_105:                              ;   in Loop: Header=BB3_35 Depth=1
	s_or_b64 exec, exec, s[22:23]
	s_waitcnt vmcnt(0)
	global_load_dwordx2 v[4:5], v[2:3], off offset:16
	s_waitcnt vmcnt(0)
	v_cmp_eq_u64_e32 vcc, 0, v[4:5]
	s_cbranch_vccnz .LBB3_107
; %bb.106:                              ;   in Loop: Header=BB3_35 Depth=1
	global_load_dword v27, v[2:3], off offset:24
	s_waitcnt vmcnt(0)
	v_readfirstlane_b32 s22, v27
	s_and_b32 m0, s22, 0xffffff
	global_store_dwordx2 v[4:5], v[27:28], off
	s_sendmsg sendmsg(MSG_INTERRUPT)
.LBB3_107:                              ;   in Loop: Header=BB3_35 Depth=1
	s_or_b64 exec, exec, s[20:21]
	v_add_co_u32_e32 v2, vcc, v24, v32
	v_addc_co_u32_e32 v3, vcc, 0, v25, vcc
	s_branch .LBB3_111
.LBB3_108:                              ;   in Loop: Header=BB3_111 Depth=2
	s_or_b64 exec, exec, s[20:21]
	v_readfirstlane_b32 s20, v4
	s_cmp_eq_u32 s20, 0
	s_cbranch_scc1 .LBB3_110
; %bb.109:                              ;   in Loop: Header=BB3_111 Depth=2
	s_sleep 1
	s_cbranch_execnz .LBB3_111
	s_branch .LBB3_113
.LBB3_110:                              ;   in Loop: Header=BB3_35 Depth=1
	s_branch .LBB3_113
.LBB3_111:                              ;   Parent Loop BB3_35 Depth=1
                                        ; =>  This Inner Loop Header: Depth=2
	v_mov_b32_e32 v4, 1
	s_and_saveexec_b64 s[20:21], s[2:3]
	s_cbranch_execz .LBB3_108
; %bb.112:                              ;   in Loop: Header=BB3_111 Depth=2
	global_load_dword v4, v[29:30], off offset:20 glc
	s_waitcnt vmcnt(0)
	buffer_wbinvl1_vol
	v_and_b32_e32 v4, 1, v4
	s_branch .LBB3_108
.LBB3_113:                              ;   in Loop: Header=BB3_35 Depth=1
	global_load_dwordx2 v[2:3], v[2:3], off
	s_and_saveexec_b64 s[20:21], s[2:3]
	s_cbranch_execz .LBB3_34
; %bb.114:                              ;   in Loop: Header=BB3_35 Depth=1
	global_load_dwordx2 v[4:5], v28, s[10:11] offset:40
	global_load_dwordx2 v[14:15], v28, s[10:11] offset:24 glc
	global_load_dwordx2 v[6:7], v28, s[10:11]
	s_waitcnt vmcnt(2)
	v_readfirstlane_b32 s22, v4
	v_readfirstlane_b32 s23, v5
	s_add_u32 s24, s22, 1
	s_addc_u32 s25, s23, 0
	s_add_u32 s2, s24, s18
	s_addc_u32 s3, s25, s19
	s_cmp_eq_u64 s[2:3], 0
	s_cselect_b32 s3, s25, s3
	s_cselect_b32 s2, s24, s2
	s_and_b64 s[18:19], s[2:3], s[22:23]
	s_mul_i32 s19, s19, 24
	s_mul_hi_u32 s22, s18, 24
	s_mul_i32 s18, s18, 24
	s_add_i32 s19, s22, s19
	v_mov_b32_e32 v4, s19
	s_waitcnt vmcnt(0)
	v_add_co_u32_e32 v10, vcc, s18, v6
	v_addc_co_u32_e32 v11, vcc, v7, v4, vcc
	v_mov_b32_e32 v12, s2
	global_store_dwordx2 v[10:11], v[14:15], off
	v_mov_b32_e32 v13, s3
	s_waitcnt vmcnt(0)
	global_atomic_cmpswap_x2 v[6:7], v28, v[12:15], s[10:11] offset:24 glc
	s_waitcnt vmcnt(0)
	v_cmp_ne_u64_e32 vcc, v[6:7], v[14:15]
	s_and_b64 exec, exec, vcc
	s_cbranch_execz .LBB3_34
; %bb.115:                              ;   in Loop: Header=BB3_35 Depth=1
	s_mov_b64 s[18:19], 0
.LBB3_116:                              ;   Parent Loop BB3_35 Depth=1
                                        ; =>  This Inner Loop Header: Depth=2
	s_sleep 1
	global_store_dwordx2 v[10:11], v[6:7], off
	v_mov_b32_e32 v4, s2
	v_mov_b32_e32 v5, s3
	s_waitcnt vmcnt(0)
	global_atomic_cmpswap_x2 v[4:5], v28, v[4:7], s[10:11] offset:24 glc
	s_waitcnt vmcnt(0)
	v_cmp_eq_u64_e32 vcc, v[4:5], v[6:7]
	v_mov_b32_e32 v7, v5
	s_or_b64 s[18:19], vcc, s[18:19]
	v_mov_b32_e32 v6, v4
	s_andn2_b64 exec, exec, s[18:19]
	s_cbranch_execnz .LBB3_116
	s_branch .LBB3_34
.LBB3_117:
	s_branch .LBB3_145
.LBB3_118:
                                        ; implicit-def: $vgpr2_vgpr3
	s_cbranch_execz .LBB3_145
; %bb.119:
	v_readfirstlane_b32 s2, v33
	v_mov_b32_e32 v8, 0
	v_mov_b32_e32 v9, 0
	v_cmp_eq_u32_e64 s[2:3], s2, v33
	s_and_saveexec_b64 s[12:13], s[2:3]
	s_cbranch_execz .LBB3_125
; %bb.120:
	s_waitcnt vmcnt(0)
	v_mov_b32_e32 v2, 0
	global_load_dwordx2 v[5:6], v2, s[10:11] offset:24 glc
	s_waitcnt vmcnt(0)
	buffer_wbinvl1_vol
	global_load_dwordx2 v[3:4], v2, s[10:11] offset:40
	global_load_dwordx2 v[7:8], v2, s[10:11]
	s_waitcnt vmcnt(1)
	v_and_b32_e32 v3, v3, v5
	v_and_b32_e32 v4, v4, v6
	v_mul_lo_u32 v4, v4, 24
	v_mul_hi_u32 v9, v3, 24
	v_mul_lo_u32 v3, v3, 24
	v_add_u32_e32 v4, v9, v4
	s_waitcnt vmcnt(0)
	v_add_co_u32_e32 v3, vcc, v7, v3
	v_addc_co_u32_e32 v4, vcc, v8, v4, vcc
	global_load_dwordx2 v[3:4], v[3:4], off glc
	s_waitcnt vmcnt(0)
	global_atomic_cmpswap_x2 v[8:9], v2, v[3:6], s[10:11] offset:24 glc
	s_waitcnt vmcnt(0)
	buffer_wbinvl1_vol
	v_cmp_ne_u64_e32 vcc, v[8:9], v[5:6]
	s_and_saveexec_b64 s[14:15], vcc
	s_cbranch_execz .LBB3_124
; %bb.121:
	s_mov_b64 s[16:17], 0
.LBB3_122:                              ; =>This Inner Loop Header: Depth=1
	s_sleep 1
	global_load_dwordx2 v[3:4], v2, s[10:11] offset:40
	global_load_dwordx2 v[10:11], v2, s[10:11]
	v_mov_b32_e32 v5, v8
	v_mov_b32_e32 v6, v9
	s_waitcnt vmcnt(1)
	v_and_b32_e32 v3, v3, v5
	s_waitcnt vmcnt(0)
	v_mad_u64_u32 v[7:8], s[18:19], v3, 24, v[10:11]
	v_and_b32_e32 v4, v4, v6
	v_mov_b32_e32 v3, v8
	v_mad_u64_u32 v[3:4], s[18:19], v4, 24, v[3:4]
	v_mov_b32_e32 v8, v3
	global_load_dwordx2 v[3:4], v[7:8], off glc
	s_waitcnt vmcnt(0)
	global_atomic_cmpswap_x2 v[8:9], v2, v[3:6], s[10:11] offset:24 glc
	s_waitcnt vmcnt(0)
	buffer_wbinvl1_vol
	v_cmp_eq_u64_e32 vcc, v[8:9], v[5:6]
	s_or_b64 s[16:17], vcc, s[16:17]
	s_andn2_b64 exec, exec, s[16:17]
	s_cbranch_execnz .LBB3_122
; %bb.123:
	s_or_b64 exec, exec, s[16:17]
.LBB3_124:
	s_or_b64 exec, exec, s[14:15]
.LBB3_125:
	s_or_b64 exec, exec, s[12:13]
	s_waitcnt vmcnt(0)
	v_mov_b32_e32 v2, 0
	global_load_dwordx2 v[10:11], v2, s[10:11] offset:40
	global_load_dwordx4 v[4:7], v2, s[10:11]
	v_readfirstlane_b32 s13, v9
	v_readfirstlane_b32 s12, v8
	s_mov_b64 s[14:15], exec
	s_waitcnt vmcnt(1)
	v_readfirstlane_b32 s16, v10
	v_readfirstlane_b32 s17, v11
	s_and_b64 s[16:17], s[16:17], s[12:13]
	s_mul_i32 s18, s17, 24
	s_mul_hi_u32 s19, s16, 24
	s_mul_i32 s20, s16, 24
	s_add_i32 s18, s19, s18
	v_mov_b32_e32 v3, s18
	s_waitcnt vmcnt(0)
	v_add_co_u32_e32 v8, vcc, s20, v4
	v_addc_co_u32_e32 v9, vcc, v5, v3, vcc
	s_and_saveexec_b64 s[18:19], s[2:3]
	s_cbranch_execz .LBB3_127
; %bb.126:
	v_mov_b32_e32 v10, s14
	v_mov_b32_e32 v11, s15
	;; [unrolled: 1-line block ×4, first 2 shown]
	global_store_dwordx4 v[8:9], v[10:13], off offset:8
.LBB3_127:
	s_or_b64 exec, exec, s[18:19]
	s_lshl_b64 s[14:15], s[16:17], 12
	v_mov_b32_e32 v3, s15
	v_add_co_u32_e32 v10, vcc, s14, v6
	v_addc_co_u32_e32 v11, vcc, v7, v3, vcc
	s_movk_i32 s14, 0xff1f
	v_and_or_b32 v0, v0, s14, 32
	s_mov_b32 s16, 0
	v_mov_b32_e32 v3, v2
	v_readfirstlane_b32 s14, v10
	v_readfirstlane_b32 s15, v11
	v_add_co_u32_e32 v6, vcc, v10, v32
	s_mov_b32 s17, s16
	s_mov_b32 s18, s16
	;; [unrolled: 1-line block ×3, first 2 shown]
	s_nop 0
	global_store_dwordx4 v32, v[0:3], s[14:15]
	v_addc_co_u32_e32 v7, vcc, 0, v11, vcc
	v_mov_b32_e32 v0, s16
	v_mov_b32_e32 v1, s17
	;; [unrolled: 1-line block ×4, first 2 shown]
	global_store_dwordx4 v32, v[0:3], s[14:15] offset:16
	global_store_dwordx4 v32, v[0:3], s[14:15] offset:32
	;; [unrolled: 1-line block ×3, first 2 shown]
	s_and_saveexec_b64 s[14:15], s[2:3]
	s_cbranch_execz .LBB3_135
; %bb.128:
	v_mov_b32_e32 v10, 0
	global_load_dwordx2 v[13:14], v10, s[10:11] offset:32 glc
	global_load_dwordx2 v[0:1], v10, s[10:11] offset:40
	v_mov_b32_e32 v11, s12
	v_mov_b32_e32 v12, s13
	s_waitcnt vmcnt(0)
	v_readfirstlane_b32 s16, v0
	v_readfirstlane_b32 s17, v1
	s_and_b64 s[16:17], s[16:17], s[12:13]
	s_mul_i32 s17, s17, 24
	s_mul_hi_u32 s18, s16, 24
	s_mul_i32 s16, s16, 24
	s_add_i32 s17, s18, s17
	v_mov_b32_e32 v0, s17
	v_add_co_u32_e32 v4, vcc, s16, v4
	v_addc_co_u32_e32 v5, vcc, v5, v0, vcc
	global_store_dwordx2 v[4:5], v[13:14], off
	s_waitcnt vmcnt(0)
	global_atomic_cmpswap_x2 v[2:3], v10, v[11:14], s[10:11] offset:32 glc
	s_waitcnt vmcnt(0)
	v_cmp_ne_u64_e32 vcc, v[2:3], v[13:14]
	s_and_saveexec_b64 s[16:17], vcc
	s_cbranch_execz .LBB3_131
; %bb.129:
	s_mov_b64 s[18:19], 0
.LBB3_130:                              ; =>This Inner Loop Header: Depth=1
	s_sleep 1
	global_store_dwordx2 v[4:5], v[2:3], off
	v_mov_b32_e32 v0, s12
	v_mov_b32_e32 v1, s13
	s_waitcnt vmcnt(0)
	global_atomic_cmpswap_x2 v[0:1], v10, v[0:3], s[10:11] offset:32 glc
	s_waitcnt vmcnt(0)
	v_cmp_eq_u64_e32 vcc, v[0:1], v[2:3]
	v_mov_b32_e32 v3, v1
	s_or_b64 s[18:19], vcc, s[18:19]
	v_mov_b32_e32 v2, v0
	s_andn2_b64 exec, exec, s[18:19]
	s_cbranch_execnz .LBB3_130
.LBB3_131:
	s_or_b64 exec, exec, s[16:17]
	v_mov_b32_e32 v3, 0
	global_load_dwordx2 v[0:1], v3, s[10:11] offset:16
	s_mov_b64 s[16:17], exec
	v_mbcnt_lo_u32_b32 v2, s16, 0
	v_mbcnt_hi_u32_b32 v2, s17, v2
	v_cmp_eq_u32_e32 vcc, 0, v2
	s_and_saveexec_b64 s[18:19], vcc
	s_cbranch_execz .LBB3_133
; %bb.132:
	s_bcnt1_i32_b64 s16, s[16:17]
	v_mov_b32_e32 v2, s16
	s_waitcnt vmcnt(0)
	global_atomic_add_x2 v[0:1], v[2:3], off offset:8
.LBB3_133:
	s_or_b64 exec, exec, s[18:19]
	s_waitcnt vmcnt(0)
	global_load_dwordx2 v[2:3], v[0:1], off offset:16
	s_waitcnt vmcnt(0)
	v_cmp_eq_u64_e32 vcc, 0, v[2:3]
	s_cbranch_vccnz .LBB3_135
; %bb.134:
	global_load_dword v0, v[0:1], off offset:24
	v_mov_b32_e32 v1, 0
	s_waitcnt vmcnt(0)
	v_readfirstlane_b32 s16, v0
	s_and_b32 m0, s16, 0xffffff
	global_store_dwordx2 v[2:3], v[0:1], off
	s_sendmsg sendmsg(MSG_INTERRUPT)
.LBB3_135:
	s_or_b64 exec, exec, s[14:15]
	s_branch .LBB3_139
.LBB3_136:                              ;   in Loop: Header=BB3_139 Depth=1
	s_or_b64 exec, exec, s[14:15]
	v_readfirstlane_b32 s14, v0
	s_cmp_eq_u32 s14, 0
	s_cbranch_scc1 .LBB3_138
; %bb.137:                              ;   in Loop: Header=BB3_139 Depth=1
	s_sleep 1
	s_cbranch_execnz .LBB3_139
	s_branch .LBB3_141
.LBB3_138:
	s_branch .LBB3_141
.LBB3_139:                              ; =>This Inner Loop Header: Depth=1
	v_mov_b32_e32 v0, 1
	s_and_saveexec_b64 s[14:15], s[2:3]
	s_cbranch_execz .LBB3_136
; %bb.140:                              ;   in Loop: Header=BB3_139 Depth=1
	global_load_dword v0, v[8:9], off offset:20 glc
	s_waitcnt vmcnt(0)
	buffer_wbinvl1_vol
	v_and_b32_e32 v0, 1, v0
	s_branch .LBB3_136
.LBB3_141:
	global_load_dwordx2 v[2:3], v[6:7], off
	s_and_saveexec_b64 s[14:15], s[2:3]
	s_cbranch_execz .LBB3_144
; %bb.142:
	v_mov_b32_e32 v8, 0
	global_load_dwordx2 v[0:1], v8, s[10:11] offset:40
	global_load_dwordx2 v[11:12], v8, s[10:11] offset:24 glc
	global_load_dwordx2 v[4:5], v8, s[10:11]
	s_waitcnt vmcnt(2)
	v_readfirstlane_b32 s16, v0
	v_readfirstlane_b32 s17, v1
	s_add_u32 s18, s16, 1
	s_addc_u32 s19, s17, 0
	s_add_u32 s2, s18, s12
	s_addc_u32 s3, s19, s13
	s_cmp_eq_u64 s[2:3], 0
	s_cselect_b32 s3, s19, s3
	s_cselect_b32 s2, s18, s2
	s_and_b64 s[12:13], s[2:3], s[16:17]
	s_mul_i32 s13, s13, 24
	s_mul_hi_u32 s16, s12, 24
	s_mul_i32 s12, s12, 24
	s_add_i32 s13, s16, s13
	v_mov_b32_e32 v1, s13
	s_waitcnt vmcnt(0)
	v_add_co_u32_e32 v0, vcc, s12, v4
	v_addc_co_u32_e32 v1, vcc, v5, v1, vcc
	v_mov_b32_e32 v9, s2
	global_store_dwordx2 v[0:1], v[11:12], off
	v_mov_b32_e32 v10, s3
	s_waitcnt vmcnt(0)
	global_atomic_cmpswap_x2 v[6:7], v8, v[9:12], s[10:11] offset:24 glc
	s_mov_b64 s[12:13], 0
	s_waitcnt vmcnt(0)
	v_cmp_ne_u64_e32 vcc, v[6:7], v[11:12]
	s_and_b64 exec, exec, vcc
	s_cbranch_execz .LBB3_144
.LBB3_143:                              ; =>This Inner Loop Header: Depth=1
	s_sleep 1
	global_store_dwordx2 v[0:1], v[6:7], off
	v_mov_b32_e32 v4, s2
	v_mov_b32_e32 v5, s3
	s_waitcnt vmcnt(0)
	global_atomic_cmpswap_x2 v[4:5], v8, v[4:7], s[10:11] offset:24 glc
	s_waitcnt vmcnt(0)
	v_cmp_eq_u64_e32 vcc, v[4:5], v[6:7]
	v_mov_b32_e32 v7, v5
	s_or_b64 s[12:13], vcc, s[12:13]
	v_mov_b32_e32 v6, v4
	s_andn2_b64 exec, exec, s[12:13]
	s_cbranch_execnz .LBB3_143
.LBB3_144:
	s_or_b64 exec, exec, s[14:15]
.LBB3_145:
	v_readfirstlane_b32 s2, v33
	s_waitcnt vmcnt(0)
	v_mov_b32_e32 v0, 0
	v_mov_b32_e32 v1, 0
	v_cmp_eq_u32_e64 s[2:3], s2, v33
	s_and_saveexec_b64 s[12:13], s[2:3]
	s_cbranch_execz .LBB3_151
; %bb.146:
	v_mov_b32_e32 v4, 0
	global_load_dwordx2 v[7:8], v4, s[10:11] offset:24 glc
	s_waitcnt vmcnt(0)
	buffer_wbinvl1_vol
	global_load_dwordx2 v[0:1], v4, s[10:11] offset:40
	global_load_dwordx2 v[5:6], v4, s[10:11]
	s_waitcnt vmcnt(1)
	v_and_b32_e32 v0, v0, v7
	v_and_b32_e32 v1, v1, v8
	v_mul_lo_u32 v1, v1, 24
	v_mul_hi_u32 v9, v0, 24
	v_mul_lo_u32 v0, v0, 24
	v_add_u32_e32 v1, v9, v1
	s_waitcnt vmcnt(0)
	v_add_co_u32_e32 v0, vcc, v5, v0
	v_addc_co_u32_e32 v1, vcc, v6, v1, vcc
	global_load_dwordx2 v[5:6], v[0:1], off glc
	s_waitcnt vmcnt(0)
	global_atomic_cmpswap_x2 v[0:1], v4, v[5:8], s[10:11] offset:24 glc
	s_waitcnt vmcnt(0)
	buffer_wbinvl1_vol
	v_cmp_ne_u64_e32 vcc, v[0:1], v[7:8]
	s_and_saveexec_b64 s[14:15], vcc
	s_cbranch_execz .LBB3_150
; %bb.147:
	s_mov_b64 s[16:17], 0
.LBB3_148:                              ; =>This Inner Loop Header: Depth=1
	s_sleep 1
	global_load_dwordx2 v[5:6], v4, s[10:11] offset:40
	global_load_dwordx2 v[9:10], v4, s[10:11]
	v_mov_b32_e32 v8, v1
	v_mov_b32_e32 v7, v0
	s_waitcnt vmcnt(1)
	v_and_b32_e32 v0, v5, v7
	s_waitcnt vmcnt(0)
	v_mad_u64_u32 v[0:1], s[18:19], v0, 24, v[9:10]
	v_and_b32_e32 v5, v6, v8
	v_mad_u64_u32 v[5:6], s[18:19], v5, 24, v[1:2]
	v_mov_b32_e32 v1, v5
	global_load_dwordx2 v[5:6], v[0:1], off glc
	s_waitcnt vmcnt(0)
	global_atomic_cmpswap_x2 v[0:1], v4, v[5:8], s[10:11] offset:24 glc
	s_waitcnt vmcnt(0)
	buffer_wbinvl1_vol
	v_cmp_eq_u64_e32 vcc, v[0:1], v[7:8]
	s_or_b64 s[16:17], vcc, s[16:17]
	s_andn2_b64 exec, exec, s[16:17]
	s_cbranch_execnz .LBB3_148
; %bb.149:
	s_or_b64 exec, exec, s[16:17]
.LBB3_150:
	s_or_b64 exec, exec, s[14:15]
.LBB3_151:
	s_or_b64 exec, exec, s[12:13]
	v_mov_b32_e32 v5, 0
	global_load_dwordx2 v[10:11], v5, s[10:11] offset:40
	global_load_dwordx4 v[6:9], v5, s[10:11]
	v_readfirstlane_b32 s13, v1
	v_readfirstlane_b32 s12, v0
	s_mov_b64 s[14:15], exec
	s_waitcnt vmcnt(1)
	v_readfirstlane_b32 s16, v10
	v_readfirstlane_b32 s17, v11
	s_and_b64 s[16:17], s[16:17], s[12:13]
	s_mul_i32 s18, s17, 24
	s_mul_hi_u32 s19, s16, 24
	s_mul_i32 s20, s16, 24
	s_add_i32 s18, s19, s18
	v_mov_b32_e32 v0, s18
	s_waitcnt vmcnt(0)
	v_add_co_u32_e32 v10, vcc, s20, v6
	v_addc_co_u32_e32 v11, vcc, v7, v0, vcc
	s_and_saveexec_b64 s[18:19], s[2:3]
	s_cbranch_execz .LBB3_153
; %bb.152:
	v_mov_b32_e32 v12, s14
	v_mov_b32_e32 v13, s15
	;; [unrolled: 1-line block ×4, first 2 shown]
	global_store_dwordx4 v[10:11], v[12:15], off offset:8
.LBB3_153:
	s_or_b64 exec, exec, s[18:19]
	s_lshl_b64 s[14:15], s[16:17], 12
	v_mov_b32_e32 v0, s15
	v_add_co_u32_e32 v1, vcc, s14, v8
	v_addc_co_u32_e32 v0, vcc, v9, v0, vcc
	s_add_i32 s20, s26, -1
	s_movk_i32 s14, 0xff1f
	s_mov_b32 s16, 0
	v_and_or_b32 v2, v2, s14, 32
	v_add_co_u32_e32 v8, vcc, v1, v32
	v_mov_b32_e32 v4, s20
	v_readfirstlane_b32 s14, v1
	v_readfirstlane_b32 s15, v0
	v_addc_co_u32_e32 v9, vcc, 0, v0, vcc
	s_mov_b32 s17, s16
	s_mov_b32 s18, s16
	;; [unrolled: 1-line block ×3, first 2 shown]
	s_nop 0
	global_store_dwordx4 v32, v[2:5], s[14:15]
	v_mov_b32_e32 v0, s16
	v_mov_b32_e32 v1, s17
	;; [unrolled: 1-line block ×4, first 2 shown]
	global_store_dwordx4 v32, v[0:3], s[14:15] offset:16
	global_store_dwordx4 v32, v[0:3], s[14:15] offset:32
	;; [unrolled: 1-line block ×3, first 2 shown]
	s_and_saveexec_b64 s[14:15], s[2:3]
	s_cbranch_execz .LBB3_161
; %bb.154:
	v_mov_b32_e32 v12, 0
	global_load_dwordx2 v[15:16], v12, s[10:11] offset:32 glc
	global_load_dwordx2 v[0:1], v12, s[10:11] offset:40
	v_mov_b32_e32 v13, s12
	v_mov_b32_e32 v14, s13
	s_waitcnt vmcnt(0)
	v_readfirstlane_b32 s16, v0
	v_readfirstlane_b32 s17, v1
	s_and_b64 s[16:17], s[16:17], s[12:13]
	s_mul_i32 s17, s17, 24
	s_mul_hi_u32 s18, s16, 24
	s_mul_i32 s16, s16, 24
	s_add_i32 s17, s18, s17
	v_mov_b32_e32 v0, s17
	v_add_co_u32_e32 v4, vcc, s16, v6
	v_addc_co_u32_e32 v5, vcc, v7, v0, vcc
	global_store_dwordx2 v[4:5], v[15:16], off
	s_waitcnt vmcnt(0)
	global_atomic_cmpswap_x2 v[2:3], v12, v[13:16], s[10:11] offset:32 glc
	s_waitcnt vmcnt(0)
	v_cmp_ne_u64_e32 vcc, v[2:3], v[15:16]
	s_and_saveexec_b64 s[16:17], vcc
	s_cbranch_execz .LBB3_157
; %bb.155:
	s_mov_b64 s[18:19], 0
.LBB3_156:                              ; =>This Inner Loop Header: Depth=1
	s_sleep 1
	global_store_dwordx2 v[4:5], v[2:3], off
	v_mov_b32_e32 v0, s12
	v_mov_b32_e32 v1, s13
	s_waitcnt vmcnt(0)
	global_atomic_cmpswap_x2 v[0:1], v12, v[0:3], s[10:11] offset:32 glc
	s_waitcnt vmcnt(0)
	v_cmp_eq_u64_e32 vcc, v[0:1], v[2:3]
	v_mov_b32_e32 v3, v1
	s_or_b64 s[18:19], vcc, s[18:19]
	v_mov_b32_e32 v2, v0
	s_andn2_b64 exec, exec, s[18:19]
	s_cbranch_execnz .LBB3_156
.LBB3_157:
	s_or_b64 exec, exec, s[16:17]
	v_mov_b32_e32 v3, 0
	global_load_dwordx2 v[0:1], v3, s[10:11] offset:16
	s_mov_b64 s[16:17], exec
	v_mbcnt_lo_u32_b32 v2, s16, 0
	v_mbcnt_hi_u32_b32 v2, s17, v2
	v_cmp_eq_u32_e32 vcc, 0, v2
	s_and_saveexec_b64 s[18:19], vcc
	s_cbranch_execz .LBB3_159
; %bb.158:
	s_bcnt1_i32_b64 s16, s[16:17]
	v_mov_b32_e32 v2, s16
	s_waitcnt vmcnt(0)
	global_atomic_add_x2 v[0:1], v[2:3], off offset:8
.LBB3_159:
	s_or_b64 exec, exec, s[18:19]
	s_waitcnt vmcnt(0)
	global_load_dwordx2 v[2:3], v[0:1], off offset:16
	s_waitcnt vmcnt(0)
	v_cmp_eq_u64_e32 vcc, 0, v[2:3]
	s_cbranch_vccnz .LBB3_161
; %bb.160:
	global_load_dword v0, v[0:1], off offset:24
	v_mov_b32_e32 v1, 0
	s_waitcnt vmcnt(0)
	v_readfirstlane_b32 s16, v0
	s_and_b32 m0, s16, 0xffffff
	global_store_dwordx2 v[2:3], v[0:1], off
	s_sendmsg sendmsg(MSG_INTERRUPT)
.LBB3_161:
	s_or_b64 exec, exec, s[14:15]
	s_branch .LBB3_165
.LBB3_162:                              ;   in Loop: Header=BB3_165 Depth=1
	s_or_b64 exec, exec, s[14:15]
	v_readfirstlane_b32 s14, v0
	s_cmp_eq_u32 s14, 0
	s_cbranch_scc1 .LBB3_164
; %bb.163:                              ;   in Loop: Header=BB3_165 Depth=1
	s_sleep 1
	s_cbranch_execnz .LBB3_165
	s_branch .LBB3_167
.LBB3_164:
	s_branch .LBB3_167
.LBB3_165:                              ; =>This Inner Loop Header: Depth=1
	v_mov_b32_e32 v0, 1
	s_and_saveexec_b64 s[14:15], s[2:3]
	s_cbranch_execz .LBB3_162
; %bb.166:                              ;   in Loop: Header=BB3_165 Depth=1
	global_load_dword v0, v[10:11], off offset:20 glc
	s_waitcnt vmcnt(0)
	buffer_wbinvl1_vol
	v_and_b32_e32 v0, 1, v0
	s_branch .LBB3_162
.LBB3_167:
	global_load_dwordx2 v[0:1], v[8:9], off
	s_and_saveexec_b64 s[14:15], s[2:3]
	s_cbranch_execz .LBB3_170
; %bb.168:
	v_mov_b32_e32 v8, 0
	global_load_dwordx2 v[2:3], v8, s[10:11] offset:40
	global_load_dwordx2 v[11:12], v8, s[10:11] offset:24 glc
	global_load_dwordx2 v[4:5], v8, s[10:11]
	s_waitcnt vmcnt(2)
	v_readfirstlane_b32 s16, v2
	v_readfirstlane_b32 s17, v3
	s_add_u32 s18, s16, 1
	s_addc_u32 s19, s17, 0
	s_add_u32 s2, s18, s12
	s_addc_u32 s3, s19, s13
	s_cmp_eq_u64 s[2:3], 0
	s_cselect_b32 s3, s19, s3
	s_cselect_b32 s2, s18, s2
	s_and_b64 s[12:13], s[2:3], s[16:17]
	s_mul_i32 s13, s13, 24
	s_mul_hi_u32 s16, s12, 24
	s_mul_i32 s12, s12, 24
	s_add_i32 s13, s16, s13
	v_mov_b32_e32 v2, s13
	s_waitcnt vmcnt(0)
	v_add_co_u32_e32 v6, vcc, s12, v4
	v_addc_co_u32_e32 v7, vcc, v5, v2, vcc
	v_mov_b32_e32 v9, s2
	global_store_dwordx2 v[6:7], v[11:12], off
	v_mov_b32_e32 v10, s3
	s_waitcnt vmcnt(0)
	global_atomic_cmpswap_x2 v[4:5], v8, v[9:12], s[10:11] offset:24 glc
	s_mov_b64 s[12:13], 0
	s_waitcnt vmcnt(0)
	v_cmp_ne_u64_e32 vcc, v[4:5], v[11:12]
	s_and_b64 exec, exec, vcc
	s_cbranch_execz .LBB3_170
.LBB3_169:                              ; =>This Inner Loop Header: Depth=1
	s_sleep 1
	global_store_dwordx2 v[6:7], v[4:5], off
	v_mov_b32_e32 v2, s2
	v_mov_b32_e32 v3, s3
	s_waitcnt vmcnt(0)
	global_atomic_cmpswap_x2 v[2:3], v8, v[2:5], s[10:11] offset:24 glc
	s_waitcnt vmcnt(0)
	v_cmp_eq_u64_e32 vcc, v[2:3], v[4:5]
	v_mov_b32_e32 v5, v3
	s_or_b64 s[12:13], vcc, s[12:13]
	v_mov_b32_e32 v4, v2
	s_andn2_b64 exec, exec, s[12:13]
	s_cbranch_execnz .LBB3_169
.LBB3_170:
	s_or_b64 exec, exec, s[14:15]
	v_readfirstlane_b32 s2, v33
	v_mov_b32_e32 v8, 0
	v_mov_b32_e32 v9, 0
	v_cmp_eq_u32_e64 s[2:3], s2, v33
	s_and_saveexec_b64 s[12:13], s[2:3]
	s_cbranch_execz .LBB3_176
; %bb.171:
	v_mov_b32_e32 v2, 0
	global_load_dwordx2 v[5:6], v2, s[10:11] offset:24 glc
	s_waitcnt vmcnt(0)
	buffer_wbinvl1_vol
	global_load_dwordx2 v[3:4], v2, s[10:11] offset:40
	global_load_dwordx2 v[7:8], v2, s[10:11]
	s_waitcnt vmcnt(1)
	v_and_b32_e32 v3, v3, v5
	v_and_b32_e32 v4, v4, v6
	v_mul_lo_u32 v4, v4, 24
	v_mul_hi_u32 v9, v3, 24
	v_mul_lo_u32 v3, v3, 24
	v_add_u32_e32 v4, v9, v4
	s_waitcnt vmcnt(0)
	v_add_co_u32_e32 v3, vcc, v7, v3
	v_addc_co_u32_e32 v4, vcc, v8, v4, vcc
	global_load_dwordx2 v[3:4], v[3:4], off glc
	s_waitcnt vmcnt(0)
	global_atomic_cmpswap_x2 v[8:9], v2, v[3:6], s[10:11] offset:24 glc
	s_waitcnt vmcnt(0)
	buffer_wbinvl1_vol
	v_cmp_ne_u64_e32 vcc, v[8:9], v[5:6]
	s_and_saveexec_b64 s[14:15], vcc
	s_cbranch_execz .LBB3_175
; %bb.172:
	s_mov_b64 s[16:17], 0
.LBB3_173:                              ; =>This Inner Loop Header: Depth=1
	s_sleep 1
	global_load_dwordx2 v[3:4], v2, s[10:11] offset:40
	global_load_dwordx2 v[10:11], v2, s[10:11]
	v_mov_b32_e32 v5, v8
	v_mov_b32_e32 v6, v9
	s_waitcnt vmcnt(1)
	v_and_b32_e32 v3, v3, v5
	s_waitcnt vmcnt(0)
	v_mad_u64_u32 v[7:8], s[18:19], v3, 24, v[10:11]
	v_and_b32_e32 v4, v4, v6
	v_mov_b32_e32 v3, v8
	v_mad_u64_u32 v[3:4], s[18:19], v4, 24, v[3:4]
	v_mov_b32_e32 v8, v3
	global_load_dwordx2 v[3:4], v[7:8], off glc
	s_waitcnt vmcnt(0)
	global_atomic_cmpswap_x2 v[8:9], v2, v[3:6], s[10:11] offset:24 glc
	s_waitcnt vmcnt(0)
	buffer_wbinvl1_vol
	v_cmp_eq_u64_e32 vcc, v[8:9], v[5:6]
	s_or_b64 s[16:17], vcc, s[16:17]
	s_andn2_b64 exec, exec, s[16:17]
	s_cbranch_execnz .LBB3_173
; %bb.174:
	s_or_b64 exec, exec, s[16:17]
.LBB3_175:
	s_or_b64 exec, exec, s[14:15]
.LBB3_176:
	s_or_b64 exec, exec, s[12:13]
	v_mov_b32_e32 v3, 0
	global_load_dwordx2 v[10:11], v3, s[10:11] offset:40
	global_load_dwordx4 v[4:7], v3, s[10:11]
	v_readfirstlane_b32 s13, v9
	v_readfirstlane_b32 s12, v8
	s_mov_b64 s[14:15], exec
	s_waitcnt vmcnt(1)
	v_readfirstlane_b32 s16, v10
	v_readfirstlane_b32 s17, v11
	s_and_b64 s[16:17], s[16:17], s[12:13]
	s_mul_i32 s18, s17, 24
	s_mul_hi_u32 s19, s16, 24
	s_mul_i32 s21, s16, 24
	s_add_i32 s18, s19, s18
	v_mov_b32_e32 v2, s18
	s_waitcnt vmcnt(0)
	v_add_co_u32_e32 v8, vcc, s21, v4
	v_addc_co_u32_e32 v9, vcc, v5, v2, vcc
	s_and_saveexec_b64 s[18:19], s[2:3]
	s_cbranch_execz .LBB3_178
; %bb.177:
	v_mov_b32_e32 v10, s14
	v_mov_b32_e32 v11, s15
	;; [unrolled: 1-line block ×4, first 2 shown]
	global_store_dwordx4 v[8:9], v[10:13], off offset:8
.LBB3_178:
	s_or_b64 exec, exec, s[18:19]
	s_lshl_b64 s[14:15], s[16:17], 12
	v_mov_b32_e32 v2, s15
	v_add_co_u32_e32 v10, vcc, s14, v6
	v_addc_co_u32_e32 v11, vcc, v7, v2, vcc
	v_cndmask_b32_e64 v2, -1, v34, s[0:1]
	s_movk_i32 s0, 0xff1f
	v_and_or_b32 v0, v0, s0, 32
	v_readfirstlane_b32 s0, v10
	v_readfirstlane_b32 s1, v11
	s_mov_b32 s16, 0
	v_add_co_u32_e32 v6, vcc, v10, v32
	s_mov_b32 s17, s16
	s_mov_b32 s18, s16
	s_nop 0
	global_store_dwordx4 v32, v[0:3], s[0:1]
	s_mov_b32 s19, s16
	v_mov_b32_e32 v0, s16
	v_addc_co_u32_e32 v7, vcc, 0, v11, vcc
	v_mov_b32_e32 v1, s17
	v_mov_b32_e32 v2, s18
	;; [unrolled: 1-line block ×3, first 2 shown]
	global_store_dwordx4 v32, v[0:3], s[0:1] offset:16
	global_store_dwordx4 v32, v[0:3], s[0:1] offset:32
	;; [unrolled: 1-line block ×3, first 2 shown]
	s_and_saveexec_b64 s[0:1], s[2:3]
	s_cbranch_execz .LBB3_186
; %bb.179:
	v_mov_b32_e32 v10, 0
	global_load_dwordx2 v[13:14], v10, s[10:11] offset:32 glc
	global_load_dwordx2 v[0:1], v10, s[10:11] offset:40
	v_mov_b32_e32 v11, s12
	v_mov_b32_e32 v12, s13
	s_waitcnt vmcnt(0)
	v_readfirstlane_b32 s14, v0
	v_readfirstlane_b32 s15, v1
	s_and_b64 s[14:15], s[14:15], s[12:13]
	s_mul_i32 s15, s15, 24
	s_mul_hi_u32 s16, s14, 24
	s_mul_i32 s14, s14, 24
	s_add_i32 s15, s16, s15
	v_mov_b32_e32 v0, s15
	v_add_co_u32_e32 v4, vcc, s14, v4
	v_addc_co_u32_e32 v5, vcc, v5, v0, vcc
	global_store_dwordx2 v[4:5], v[13:14], off
	s_waitcnt vmcnt(0)
	global_atomic_cmpswap_x2 v[2:3], v10, v[11:14], s[10:11] offset:32 glc
	s_waitcnt vmcnt(0)
	v_cmp_ne_u64_e32 vcc, v[2:3], v[13:14]
	s_and_saveexec_b64 s[14:15], vcc
	s_cbranch_execz .LBB3_182
; %bb.180:
	s_mov_b64 s[16:17], 0
.LBB3_181:                              ; =>This Inner Loop Header: Depth=1
	s_sleep 1
	global_store_dwordx2 v[4:5], v[2:3], off
	v_mov_b32_e32 v0, s12
	v_mov_b32_e32 v1, s13
	s_waitcnt vmcnt(0)
	global_atomic_cmpswap_x2 v[0:1], v10, v[0:3], s[10:11] offset:32 glc
	s_waitcnt vmcnt(0)
	v_cmp_eq_u64_e32 vcc, v[0:1], v[2:3]
	v_mov_b32_e32 v3, v1
	s_or_b64 s[16:17], vcc, s[16:17]
	v_mov_b32_e32 v2, v0
	s_andn2_b64 exec, exec, s[16:17]
	s_cbranch_execnz .LBB3_181
.LBB3_182:
	s_or_b64 exec, exec, s[14:15]
	v_mov_b32_e32 v3, 0
	global_load_dwordx2 v[0:1], v3, s[10:11] offset:16
	s_mov_b64 s[14:15], exec
	v_mbcnt_lo_u32_b32 v2, s14, 0
	v_mbcnt_hi_u32_b32 v2, s15, v2
	v_cmp_eq_u32_e32 vcc, 0, v2
	s_and_saveexec_b64 s[16:17], vcc
	s_cbranch_execz .LBB3_184
; %bb.183:
	s_bcnt1_i32_b64 s14, s[14:15]
	v_mov_b32_e32 v2, s14
	s_waitcnt vmcnt(0)
	global_atomic_add_x2 v[0:1], v[2:3], off offset:8
.LBB3_184:
	s_or_b64 exec, exec, s[16:17]
	s_waitcnt vmcnt(0)
	global_load_dwordx2 v[2:3], v[0:1], off offset:16
	s_waitcnt vmcnt(0)
	v_cmp_eq_u64_e32 vcc, 0, v[2:3]
	s_cbranch_vccnz .LBB3_186
; %bb.185:
	global_load_dword v0, v[0:1], off offset:24
	v_mov_b32_e32 v1, 0
	s_waitcnt vmcnt(0)
	v_readfirstlane_b32 s14, v0
	s_and_b32 m0, s14, 0xffffff
	global_store_dwordx2 v[2:3], v[0:1], off
	s_sendmsg sendmsg(MSG_INTERRUPT)
.LBB3_186:
	s_or_b64 exec, exec, s[0:1]
	s_branch .LBB3_190
.LBB3_187:                              ;   in Loop: Header=BB3_190 Depth=1
	s_or_b64 exec, exec, s[0:1]
	v_readfirstlane_b32 s0, v0
	s_cmp_eq_u32 s0, 0
	s_cbranch_scc1 .LBB3_189
; %bb.188:                              ;   in Loop: Header=BB3_190 Depth=1
	s_sleep 1
	s_cbranch_execnz .LBB3_190
	s_branch .LBB3_192
.LBB3_189:
	s_branch .LBB3_192
.LBB3_190:                              ; =>This Inner Loop Header: Depth=1
	v_mov_b32_e32 v0, 1
	s_and_saveexec_b64 s[0:1], s[2:3]
	s_cbranch_execz .LBB3_187
; %bb.191:                              ;   in Loop: Header=BB3_190 Depth=1
	global_load_dword v0, v[8:9], off offset:20 glc
	s_waitcnt vmcnt(0)
	buffer_wbinvl1_vol
	v_and_b32_e32 v0, 1, v0
	s_branch .LBB3_187
.LBB3_192:
	global_load_dwordx2 v[0:1], v[6:7], off
	s_and_saveexec_b64 s[0:1], s[2:3]
	s_cbranch_execz .LBB3_195
; %bb.193:
	v_mov_b32_e32 v8, 0
	global_load_dwordx2 v[2:3], v8, s[10:11] offset:40
	global_load_dwordx2 v[11:12], v8, s[10:11] offset:24 glc
	global_load_dwordx2 v[4:5], v8, s[10:11]
	s_waitcnt vmcnt(2)
	v_readfirstlane_b32 s14, v2
	v_readfirstlane_b32 s15, v3
	s_add_u32 s16, s14, 1
	s_addc_u32 s17, s15, 0
	s_add_u32 s2, s16, s12
	s_addc_u32 s3, s17, s13
	s_cmp_eq_u64 s[2:3], 0
	s_cselect_b32 s3, s17, s3
	s_cselect_b32 s2, s16, s2
	s_and_b64 s[12:13], s[2:3], s[14:15]
	s_mul_i32 s13, s13, 24
	s_mul_hi_u32 s14, s12, 24
	s_mul_i32 s12, s12, 24
	s_add_i32 s13, s14, s13
	v_mov_b32_e32 v2, s13
	s_waitcnt vmcnt(0)
	v_add_co_u32_e32 v6, vcc, s12, v4
	v_addc_co_u32_e32 v7, vcc, v5, v2, vcc
	v_mov_b32_e32 v9, s2
	global_store_dwordx2 v[6:7], v[11:12], off
	v_mov_b32_e32 v10, s3
	s_waitcnt vmcnt(0)
	global_atomic_cmpswap_x2 v[4:5], v8, v[9:12], s[10:11] offset:24 glc
	s_mov_b64 s[12:13], 0
	s_waitcnt vmcnt(0)
	v_cmp_ne_u64_e32 vcc, v[4:5], v[11:12]
	s_and_b64 exec, exec, vcc
	s_cbranch_execz .LBB3_195
.LBB3_194:                              ; =>This Inner Loop Header: Depth=1
	s_sleep 1
	global_store_dwordx2 v[6:7], v[4:5], off
	v_mov_b32_e32 v2, s2
	v_mov_b32_e32 v3, s3
	s_waitcnt vmcnt(0)
	global_atomic_cmpswap_x2 v[2:3], v8, v[2:5], s[10:11] offset:24 glc
	s_waitcnt vmcnt(0)
	v_cmp_eq_u64_e32 vcc, v[2:3], v[4:5]
	v_mov_b32_e32 v5, v3
	s_or_b64 s[12:13], vcc, s[12:13]
	v_mov_b32_e32 v4, v2
	s_andn2_b64 exec, exec, s[12:13]
	s_cbranch_execnz .LBB3_194
.LBB3_195:
	s_or_b64 exec, exec, s[0:1]
	v_readfirstlane_b32 s0, v33
	v_mov_b32_e32 v8, 0
	v_mov_b32_e32 v9, 0
	v_cmp_eq_u32_e64 s[0:1], s0, v33
	s_and_saveexec_b64 s[2:3], s[0:1]
	s_cbranch_execz .LBB3_201
; %bb.196:
	v_mov_b32_e32 v2, 0
	global_load_dwordx2 v[5:6], v2, s[10:11] offset:24 glc
	s_waitcnt vmcnt(0)
	buffer_wbinvl1_vol
	global_load_dwordx2 v[3:4], v2, s[10:11] offset:40
	global_load_dwordx2 v[7:8], v2, s[10:11]
	s_waitcnt vmcnt(1)
	v_and_b32_e32 v3, v3, v5
	v_and_b32_e32 v4, v4, v6
	v_mul_lo_u32 v4, v4, 24
	v_mul_hi_u32 v9, v3, 24
	v_mul_lo_u32 v3, v3, 24
	v_add_u32_e32 v4, v9, v4
	s_waitcnt vmcnt(0)
	v_add_co_u32_e32 v3, vcc, v7, v3
	v_addc_co_u32_e32 v4, vcc, v8, v4, vcc
	global_load_dwordx2 v[3:4], v[3:4], off glc
	s_waitcnt vmcnt(0)
	global_atomic_cmpswap_x2 v[8:9], v2, v[3:6], s[10:11] offset:24 glc
	s_waitcnt vmcnt(0)
	buffer_wbinvl1_vol
	v_cmp_ne_u64_e32 vcc, v[8:9], v[5:6]
	s_and_saveexec_b64 s[12:13], vcc
	s_cbranch_execz .LBB3_200
; %bb.197:
	s_mov_b64 s[14:15], 0
.LBB3_198:                              ; =>This Inner Loop Header: Depth=1
	s_sleep 1
	global_load_dwordx2 v[3:4], v2, s[10:11] offset:40
	global_load_dwordx2 v[10:11], v2, s[10:11]
	v_mov_b32_e32 v5, v8
	v_mov_b32_e32 v6, v9
	s_waitcnt vmcnt(1)
	v_and_b32_e32 v3, v3, v5
	s_waitcnt vmcnt(0)
	v_mad_u64_u32 v[7:8], s[16:17], v3, 24, v[10:11]
	v_and_b32_e32 v4, v4, v6
	v_mov_b32_e32 v3, v8
	v_mad_u64_u32 v[3:4], s[16:17], v4, 24, v[3:4]
	v_mov_b32_e32 v8, v3
	global_load_dwordx2 v[3:4], v[7:8], off glc
	s_waitcnt vmcnt(0)
	global_atomic_cmpswap_x2 v[8:9], v2, v[3:6], s[10:11] offset:24 glc
	s_waitcnt vmcnt(0)
	buffer_wbinvl1_vol
	v_cmp_eq_u64_e32 vcc, v[8:9], v[5:6]
	s_or_b64 s[14:15], vcc, s[14:15]
	s_andn2_b64 exec, exec, s[14:15]
	s_cbranch_execnz .LBB3_198
; %bb.199:
	s_or_b64 exec, exec, s[14:15]
.LBB3_200:
	s_or_b64 exec, exec, s[12:13]
.LBB3_201:
	s_or_b64 exec, exec, s[2:3]
	v_mov_b32_e32 v3, 0
	global_load_dwordx2 v[10:11], v3, s[10:11] offset:40
	global_load_dwordx4 v[4:7], v3, s[10:11]
	v_readfirstlane_b32 s3, v9
	v_readfirstlane_b32 s2, v8
	s_mov_b64 s[12:13], exec
	s_waitcnt vmcnt(1)
	v_readfirstlane_b32 s14, v10
	v_readfirstlane_b32 s15, v11
	s_and_b64 s[14:15], s[14:15], s[2:3]
	s_mul_i32 s16, s15, 24
	s_mul_hi_u32 s17, s14, 24
	s_mul_i32 s18, s14, 24
	s_add_i32 s16, s17, s16
	v_mov_b32_e32 v2, s16
	s_waitcnt vmcnt(0)
	v_add_co_u32_e32 v8, vcc, s18, v4
	v_addc_co_u32_e32 v9, vcc, v5, v2, vcc
	s_and_saveexec_b64 s[16:17], s[0:1]
	s_cbranch_execz .LBB3_203
; %bb.202:
	v_mov_b32_e32 v10, s12
	v_mov_b32_e32 v11, s13
	;; [unrolled: 1-line block ×4, first 2 shown]
	global_store_dwordx4 v[8:9], v[10:13], off offset:8
.LBB3_203:
	s_or_b64 exec, exec, s[16:17]
	s_lshl_b64 s[12:13], s[14:15], 12
	v_mov_b32_e32 v2, s13
	v_add_co_u32_e32 v6, vcc, s12, v6
	s_mul_i32 s20, s20, s26
	v_addc_co_u32_e32 v7, vcc, v7, v2, vcc
	s_lshr_b32 s13, s20, 1
	s_movk_i32 s14, 0xff1d
	s_mov_b32 s12, 0
	v_and_or_b32 v0, v0, s14, 34
	v_mov_b32_e32 v2, s13
	v_readfirstlane_b32 s16, v6
	v_readfirstlane_b32 s17, v7
	s_mov_b32 s13, s12
	s_mov_b32 s14, s12
	;; [unrolled: 1-line block ×3, first 2 shown]
	s_nop 1
	global_store_dwordx4 v32, v[0:3], s[16:17]
	s_nop 0
	v_mov_b32_e32 v0, s12
	v_mov_b32_e32 v1, s13
	;; [unrolled: 1-line block ×4, first 2 shown]
	global_store_dwordx4 v32, v[0:3], s[16:17] offset:16
	global_store_dwordx4 v32, v[0:3], s[16:17] offset:32
	;; [unrolled: 1-line block ×3, first 2 shown]
	s_and_saveexec_b64 s[12:13], s[0:1]
	s_cbranch_execz .LBB3_211
; %bb.204:
	v_mov_b32_e32 v6, 0
	global_load_dwordx2 v[12:13], v6, s[10:11] offset:32 glc
	global_load_dwordx2 v[0:1], v6, s[10:11] offset:40
	v_mov_b32_e32 v10, s2
	v_mov_b32_e32 v11, s3
	s_waitcnt vmcnt(0)
	v_readfirstlane_b32 s14, v0
	v_readfirstlane_b32 s15, v1
	s_and_b64 s[14:15], s[14:15], s[2:3]
	s_mul_i32 s15, s15, 24
	s_mul_hi_u32 s16, s14, 24
	s_mul_i32 s14, s14, 24
	s_add_i32 s15, s16, s15
	v_mov_b32_e32 v0, s15
	v_add_co_u32_e32 v4, vcc, s14, v4
	v_addc_co_u32_e32 v5, vcc, v5, v0, vcc
	global_store_dwordx2 v[4:5], v[12:13], off
	s_waitcnt vmcnt(0)
	global_atomic_cmpswap_x2 v[2:3], v6, v[10:13], s[10:11] offset:32 glc
	s_waitcnt vmcnt(0)
	v_cmp_ne_u64_e32 vcc, v[2:3], v[12:13]
	s_and_saveexec_b64 s[14:15], vcc
	s_cbranch_execz .LBB3_207
; %bb.205:
	s_mov_b64 s[16:17], 0
.LBB3_206:                              ; =>This Inner Loop Header: Depth=1
	s_sleep 1
	global_store_dwordx2 v[4:5], v[2:3], off
	v_mov_b32_e32 v0, s2
	v_mov_b32_e32 v1, s3
	s_waitcnt vmcnt(0)
	global_atomic_cmpswap_x2 v[0:1], v6, v[0:3], s[10:11] offset:32 glc
	s_waitcnt vmcnt(0)
	v_cmp_eq_u64_e32 vcc, v[0:1], v[2:3]
	v_mov_b32_e32 v3, v1
	s_or_b64 s[16:17], vcc, s[16:17]
	v_mov_b32_e32 v2, v0
	s_andn2_b64 exec, exec, s[16:17]
	s_cbranch_execnz .LBB3_206
.LBB3_207:
	s_or_b64 exec, exec, s[14:15]
	v_mov_b32_e32 v3, 0
	global_load_dwordx2 v[0:1], v3, s[10:11] offset:16
	s_mov_b64 s[14:15], exec
	v_mbcnt_lo_u32_b32 v2, s14, 0
	v_mbcnt_hi_u32_b32 v2, s15, v2
	v_cmp_eq_u32_e32 vcc, 0, v2
	s_and_saveexec_b64 s[16:17], vcc
	s_cbranch_execz .LBB3_209
; %bb.208:
	s_bcnt1_i32_b64 s14, s[14:15]
	v_mov_b32_e32 v2, s14
	s_waitcnt vmcnt(0)
	global_atomic_add_x2 v[0:1], v[2:3], off offset:8
.LBB3_209:
	s_or_b64 exec, exec, s[16:17]
	s_waitcnt vmcnt(0)
	global_load_dwordx2 v[2:3], v[0:1], off offset:16
	s_waitcnt vmcnt(0)
	v_cmp_eq_u64_e32 vcc, 0, v[2:3]
	s_cbranch_vccnz .LBB3_211
; %bb.210:
	global_load_dword v0, v[0:1], off offset:24
	v_mov_b32_e32 v1, 0
	s_waitcnt vmcnt(0)
	v_readfirstlane_b32 s14, v0
	s_and_b32 m0, s14, 0xffffff
	global_store_dwordx2 v[2:3], v[0:1], off
	s_sendmsg sendmsg(MSG_INTERRUPT)
.LBB3_211:
	s_or_b64 exec, exec, s[12:13]
	s_branch .LBB3_215
.LBB3_212:                              ;   in Loop: Header=BB3_215 Depth=1
	s_or_b64 exec, exec, s[12:13]
	v_readfirstlane_b32 s12, v0
	s_cmp_eq_u32 s12, 0
	s_cbranch_scc1 .LBB3_214
; %bb.213:                              ;   in Loop: Header=BB3_215 Depth=1
	s_sleep 1
	s_cbranch_execnz .LBB3_215
	s_branch .LBB3_217
.LBB3_214:
	s_branch .LBB3_217
.LBB3_215:                              ; =>This Inner Loop Header: Depth=1
	v_mov_b32_e32 v0, 1
	s_and_saveexec_b64 s[12:13], s[0:1]
	s_cbranch_execz .LBB3_212
; %bb.216:                              ;   in Loop: Header=BB3_215 Depth=1
	global_load_dword v0, v[8:9], off offset:20 glc
	s_waitcnt vmcnt(0)
	buffer_wbinvl1_vol
	v_and_b32_e32 v0, 1, v0
	s_branch .LBB3_212
.LBB3_217:
	s_and_saveexec_b64 s[12:13], s[0:1]
	s_cbranch_execz .LBB3_220
; %bb.218:
	v_mov_b32_e32 v6, 0
	global_load_dwordx2 v[0:1], v6, s[10:11] offset:40
	global_load_dwordx2 v[9:10], v6, s[10:11] offset:24 glc
	global_load_dwordx2 v[2:3], v6, s[10:11]
	s_waitcnt vmcnt(2)
	v_readfirstlane_b32 s14, v0
	v_readfirstlane_b32 s15, v1
	s_add_u32 s16, s14, 1
	s_addc_u32 s17, s15, 0
	s_add_u32 s0, s16, s2
	s_addc_u32 s1, s17, s3
	s_cmp_eq_u64 s[0:1], 0
	s_cselect_b32 s1, s17, s1
	s_cselect_b32 s0, s16, s0
	s_and_b64 s[2:3], s[0:1], s[14:15]
	s_mul_i32 s3, s3, 24
	s_mul_hi_u32 s14, s2, 24
	s_mul_i32 s2, s2, 24
	s_add_i32 s3, s14, s3
	v_mov_b32_e32 v0, s3
	s_waitcnt vmcnt(0)
	v_add_co_u32_e32 v4, vcc, s2, v2
	v_addc_co_u32_e32 v5, vcc, v3, v0, vcc
	v_mov_b32_e32 v7, s0
	global_store_dwordx2 v[4:5], v[9:10], off
	v_mov_b32_e32 v8, s1
	s_waitcnt vmcnt(0)
	global_atomic_cmpswap_x2 v[2:3], v6, v[7:10], s[10:11] offset:24 glc
	s_mov_b64 s[2:3], 0
	s_waitcnt vmcnt(0)
	v_cmp_ne_u64_e32 vcc, v[2:3], v[9:10]
	s_and_b64 exec, exec, vcc
	s_cbranch_execz .LBB3_220
.LBB3_219:                              ; =>This Inner Loop Header: Depth=1
	s_sleep 1
	global_store_dwordx2 v[4:5], v[2:3], off
	v_mov_b32_e32 v0, s0
	v_mov_b32_e32 v1, s1
	s_waitcnt vmcnt(0)
	global_atomic_cmpswap_x2 v[0:1], v6, v[0:3], s[10:11] offset:24 glc
	s_waitcnt vmcnt(0)
	v_cmp_eq_u64_e32 vcc, v[0:1], v[2:3]
	v_mov_b32_e32 v3, v1
	s_or_b64 s[2:3], vcc, s[2:3]
	v_mov_b32_e32 v2, v0
	s_andn2_b64 exec, exec, s[2:3]
	s_cbranch_execnz .LBB3_219
.LBB3_220:
	s_or_b64 exec, exec, s[12:13]
	v_readfirstlane_b32 s0, v33
	v_mov_b32_e32 v5, 0
	v_mov_b32_e32 v6, 0
	v_cmp_eq_u32_e64 s[0:1], s0, v33
	s_and_saveexec_b64 s[2:3], s[0:1]
	s_cbranch_execz .LBB3_226
; %bb.221:
	v_mov_b32_e32 v0, 0
	global_load_dwordx2 v[3:4], v0, s[10:11] offset:24 glc
	s_waitcnt vmcnt(0)
	buffer_wbinvl1_vol
	global_load_dwordx2 v[1:2], v0, s[10:11] offset:40
	global_load_dwordx2 v[5:6], v0, s[10:11]
	s_waitcnt vmcnt(1)
	v_and_b32_e32 v1, v1, v3
	v_and_b32_e32 v2, v2, v4
	v_mul_lo_u32 v2, v2, 24
	v_mul_hi_u32 v7, v1, 24
	v_mul_lo_u32 v1, v1, 24
	v_add_u32_e32 v2, v7, v2
	s_waitcnt vmcnt(0)
	v_add_co_u32_e32 v1, vcc, v5, v1
	v_addc_co_u32_e32 v2, vcc, v6, v2, vcc
	global_load_dwordx2 v[1:2], v[1:2], off glc
	s_waitcnt vmcnt(0)
	global_atomic_cmpswap_x2 v[5:6], v0, v[1:4], s[10:11] offset:24 glc
	s_waitcnt vmcnt(0)
	buffer_wbinvl1_vol
	v_cmp_ne_u64_e32 vcc, v[5:6], v[3:4]
	s_and_saveexec_b64 s[12:13], vcc
	s_cbranch_execz .LBB3_225
; %bb.222:
	s_mov_b64 s[14:15], 0
.LBB3_223:                              ; =>This Inner Loop Header: Depth=1
	s_sleep 1
	global_load_dwordx2 v[1:2], v0, s[10:11] offset:40
	global_load_dwordx2 v[7:8], v0, s[10:11]
	v_mov_b32_e32 v3, v5
	v_mov_b32_e32 v4, v6
	s_waitcnt vmcnt(1)
	v_and_b32_e32 v1, v1, v3
	s_waitcnt vmcnt(0)
	v_mad_u64_u32 v[5:6], s[16:17], v1, 24, v[7:8]
	v_and_b32_e32 v2, v2, v4
	v_mov_b32_e32 v1, v6
	v_mad_u64_u32 v[1:2], s[16:17], v2, 24, v[1:2]
	v_mov_b32_e32 v6, v1
	global_load_dwordx2 v[1:2], v[5:6], off glc
	s_waitcnt vmcnt(0)
	global_atomic_cmpswap_x2 v[5:6], v0, v[1:4], s[10:11] offset:24 glc
	s_waitcnt vmcnt(0)
	buffer_wbinvl1_vol
	v_cmp_eq_u64_e32 vcc, v[5:6], v[3:4]
	s_or_b64 s[14:15], vcc, s[14:15]
	s_andn2_b64 exec, exec, s[14:15]
	s_cbranch_execnz .LBB3_223
; %bb.224:
	s_or_b64 exec, exec, s[14:15]
.LBB3_225:
	s_or_b64 exec, exec, s[12:13]
.LBB3_226:
	s_or_b64 exec, exec, s[2:3]
	v_mov_b32_e32 v4, 0
	global_load_dwordx2 v[7:8], v4, s[10:11] offset:40
	global_load_dwordx4 v[0:3], v4, s[10:11]
	v_readfirstlane_b32 s3, v6
	v_readfirstlane_b32 s2, v5
	s_mov_b64 s[12:13], exec
	s_waitcnt vmcnt(1)
	v_readfirstlane_b32 s14, v7
	v_readfirstlane_b32 s15, v8
	s_and_b64 s[14:15], s[14:15], s[2:3]
	s_mul_i32 s16, s15, 24
	s_mul_hi_u32 s17, s14, 24
	s_mul_i32 s18, s14, 24
	s_add_i32 s16, s17, s16
	v_mov_b32_e32 v5, s16
	s_waitcnt vmcnt(0)
	v_add_co_u32_e32 v7, vcc, s18, v0
	v_addc_co_u32_e32 v8, vcc, v1, v5, vcc
	s_and_saveexec_b64 s[16:17], s[0:1]
	s_cbranch_execz .LBB3_228
; %bb.227:
	v_mov_b32_e32 v9, s12
	v_mov_b32_e32 v10, s13
	;; [unrolled: 1-line block ×4, first 2 shown]
	global_store_dwordx4 v[7:8], v[9:12], off offset:8
.LBB3_228:
	s_or_b64 exec, exec, s[16:17]
	s_lshl_b64 s[12:13], s[14:15], 12
	v_mov_b32_e32 v5, s13
	v_add_co_u32_e32 v2, vcc, s12, v2
	v_addc_co_u32_e32 v11, vcc, v3, v5, vcc
	s_mov_b32 s12, 0
	v_mov_b32_e32 v3, 33
	v_mov_b32_e32 v5, v4
	;; [unrolled: 1-line block ×3, first 2 shown]
	v_readfirstlane_b32 s16, v2
	v_readfirstlane_b32 s17, v11
	v_add_co_u32_e32 v9, vcc, v2, v32
	s_mov_b32 s13, s12
	s_mov_b32 s14, s12
	;; [unrolled: 1-line block ×3, first 2 shown]
	s_nop 0
	global_store_dwordx4 v32, v[3:6], s[16:17]
	v_mov_b32_e32 v2, s12
	v_addc_co_u32_e32 v10, vcc, 0, v11, vcc
	v_mov_b32_e32 v3, s13
	v_mov_b32_e32 v4, s14
	;; [unrolled: 1-line block ×3, first 2 shown]
	global_store_dwordx4 v32, v[2:5], s[16:17] offset:16
	global_store_dwordx4 v32, v[2:5], s[16:17] offset:32
	;; [unrolled: 1-line block ×3, first 2 shown]
	s_and_saveexec_b64 s[12:13], s[0:1]
	s_cbranch_execz .LBB3_236
; %bb.229:
	v_mov_b32_e32 v6, 0
	global_load_dwordx2 v[13:14], v6, s[10:11] offset:32 glc
	global_load_dwordx2 v[2:3], v6, s[10:11] offset:40
	v_mov_b32_e32 v11, s2
	v_mov_b32_e32 v12, s3
	s_waitcnt vmcnt(0)
	v_readfirstlane_b32 s14, v2
	v_readfirstlane_b32 s15, v3
	s_and_b64 s[14:15], s[14:15], s[2:3]
	s_mul_i32 s15, s15, 24
	s_mul_hi_u32 s16, s14, 24
	s_mul_i32 s14, s14, 24
	s_add_i32 s15, s16, s15
	v_mov_b32_e32 v2, s15
	v_add_co_u32_e32 v4, vcc, s14, v0
	v_addc_co_u32_e32 v5, vcc, v1, v2, vcc
	global_store_dwordx2 v[4:5], v[13:14], off
	s_waitcnt vmcnt(0)
	global_atomic_cmpswap_x2 v[2:3], v6, v[11:14], s[10:11] offset:32 glc
	s_waitcnt vmcnt(0)
	v_cmp_ne_u64_e32 vcc, v[2:3], v[13:14]
	s_and_saveexec_b64 s[14:15], vcc
	s_cbranch_execz .LBB3_232
; %bb.230:
	s_mov_b64 s[16:17], 0
.LBB3_231:                              ; =>This Inner Loop Header: Depth=1
	s_sleep 1
	global_store_dwordx2 v[4:5], v[2:3], off
	v_mov_b32_e32 v0, s2
	v_mov_b32_e32 v1, s3
	s_waitcnt vmcnt(0)
	global_atomic_cmpswap_x2 v[0:1], v6, v[0:3], s[10:11] offset:32 glc
	s_waitcnt vmcnt(0)
	v_cmp_eq_u64_e32 vcc, v[0:1], v[2:3]
	v_mov_b32_e32 v3, v1
	s_or_b64 s[16:17], vcc, s[16:17]
	v_mov_b32_e32 v2, v0
	s_andn2_b64 exec, exec, s[16:17]
	s_cbranch_execnz .LBB3_231
.LBB3_232:
	s_or_b64 exec, exec, s[14:15]
	v_mov_b32_e32 v3, 0
	global_load_dwordx2 v[0:1], v3, s[10:11] offset:16
	s_mov_b64 s[14:15], exec
	v_mbcnt_lo_u32_b32 v2, s14, 0
	v_mbcnt_hi_u32_b32 v2, s15, v2
	v_cmp_eq_u32_e32 vcc, 0, v2
	s_and_saveexec_b64 s[16:17], vcc
	s_cbranch_execz .LBB3_234
; %bb.233:
	s_bcnt1_i32_b64 s14, s[14:15]
	v_mov_b32_e32 v2, s14
	s_waitcnt vmcnt(0)
	global_atomic_add_x2 v[0:1], v[2:3], off offset:8
.LBB3_234:
	s_or_b64 exec, exec, s[16:17]
	s_waitcnt vmcnt(0)
	global_load_dwordx2 v[2:3], v[0:1], off offset:16
	s_waitcnt vmcnt(0)
	v_cmp_eq_u64_e32 vcc, 0, v[2:3]
	s_cbranch_vccnz .LBB3_236
; %bb.235:
	global_load_dword v0, v[0:1], off offset:24
	v_mov_b32_e32 v1, 0
	s_waitcnt vmcnt(0)
	v_readfirstlane_b32 s14, v0
	s_and_b32 m0, s14, 0xffffff
	global_store_dwordx2 v[2:3], v[0:1], off
	s_sendmsg sendmsg(MSG_INTERRUPT)
.LBB3_236:
	s_or_b64 exec, exec, s[12:13]
	s_branch .LBB3_240
.LBB3_237:                              ;   in Loop: Header=BB3_240 Depth=1
	s_or_b64 exec, exec, s[12:13]
	v_readfirstlane_b32 s12, v0
	s_cmp_eq_u32 s12, 0
	s_cbranch_scc1 .LBB3_239
; %bb.238:                              ;   in Loop: Header=BB3_240 Depth=1
	s_sleep 1
	s_cbranch_execnz .LBB3_240
	s_branch .LBB3_242
.LBB3_239:
	s_branch .LBB3_242
.LBB3_240:                              ; =>This Inner Loop Header: Depth=1
	v_mov_b32_e32 v0, 1
	s_and_saveexec_b64 s[12:13], s[0:1]
	s_cbranch_execz .LBB3_237
; %bb.241:                              ;   in Loop: Header=BB3_240 Depth=1
	global_load_dword v0, v[7:8], off offset:20 glc
	s_waitcnt vmcnt(0)
	buffer_wbinvl1_vol
	v_and_b32_e32 v0, 1, v0
	s_branch .LBB3_237
.LBB3_242:
	global_load_dwordx2 v[0:1], v[9:10], off
	s_and_saveexec_b64 s[12:13], s[0:1]
	s_cbranch_execz .LBB3_245
; %bb.243:
	v_mov_b32_e32 v8, 0
	global_load_dwordx2 v[2:3], v8, s[10:11] offset:40
	global_load_dwordx2 v[11:12], v8, s[10:11] offset:24 glc
	global_load_dwordx2 v[4:5], v8, s[10:11]
	s_waitcnt vmcnt(2)
	v_readfirstlane_b32 s14, v2
	v_readfirstlane_b32 s15, v3
	s_add_u32 s16, s14, 1
	s_addc_u32 s17, s15, 0
	s_add_u32 s0, s16, s2
	s_addc_u32 s1, s17, s3
	s_cmp_eq_u64 s[0:1], 0
	s_cselect_b32 s1, s17, s1
	s_cselect_b32 s0, s16, s0
	s_and_b64 s[2:3], s[0:1], s[14:15]
	s_mul_i32 s3, s3, 24
	s_mul_hi_u32 s14, s2, 24
	s_mul_i32 s2, s2, 24
	s_add_i32 s3, s14, s3
	v_mov_b32_e32 v2, s3
	s_waitcnt vmcnt(0)
	v_add_co_u32_e32 v6, vcc, s2, v4
	v_addc_co_u32_e32 v7, vcc, v5, v2, vcc
	v_mov_b32_e32 v9, s0
	global_store_dwordx2 v[6:7], v[11:12], off
	v_mov_b32_e32 v10, s1
	s_waitcnt vmcnt(0)
	global_atomic_cmpswap_x2 v[4:5], v8, v[9:12], s[10:11] offset:24 glc
	s_mov_b64 s[2:3], 0
	s_waitcnt vmcnt(0)
	v_cmp_ne_u64_e32 vcc, v[4:5], v[11:12]
	s_and_b64 exec, exec, vcc
	s_cbranch_execz .LBB3_245
.LBB3_244:                              ; =>This Inner Loop Header: Depth=1
	s_sleep 1
	global_store_dwordx2 v[6:7], v[4:5], off
	v_mov_b32_e32 v2, s0
	v_mov_b32_e32 v3, s1
	s_waitcnt vmcnt(0)
	global_atomic_cmpswap_x2 v[2:3], v8, v[2:5], s[10:11] offset:24 glc
	s_waitcnt vmcnt(0)
	v_cmp_eq_u64_e32 vcc, v[2:3], v[4:5]
	v_mov_b32_e32 v5, v3
	s_or_b64 s[2:3], vcc, s[2:3]
	v_mov_b32_e32 v4, v2
	s_andn2_b64 exec, exec, s[2:3]
	s_cbranch_execnz .LBB3_244
.LBB3_245:
	s_or_b64 exec, exec, s[12:13]
	s_getpc_b64 s[2:3]
	s_add_u32 s2, s2, .str.1@rel32@lo+4
	s_addc_u32 s3, s3, .str.1@rel32@hi+12
	s_cmp_lg_u64 s[2:3], 0
	s_cbranch_scc0 .LBB3_331
; %bb.246:
	s_waitcnt vmcnt(0)
	v_and_b32_e32 v34, 2, v0
	v_mov_b32_e32 v28, 0
	v_and_b32_e32 v2, -3, v0
	v_mov_b32_e32 v3, v1
	s_mov_b64 s[12:13], 48
	v_mov_b32_e32 v8, 2
	v_mov_b32_e32 v9, 1
	s_branch .LBB3_248
.LBB3_247:                              ;   in Loop: Header=BB3_248 Depth=1
	s_or_b64 exec, exec, s[18:19]
	s_sub_u32 s12, s12, s14
	s_subb_u32 s13, s13, s15
	s_add_u32 s2, s2, s14
	s_addc_u32 s3, s3, s15
	s_cmp_lg_u64 s[12:13], 0
	s_cbranch_scc0 .LBB3_330
.LBB3_248:                              ; =>This Loop Header: Depth=1
                                        ;     Child Loop BB3_251 Depth 2
                                        ;     Child Loop BB3_259 Depth 2
	;; [unrolled: 1-line block ×11, first 2 shown]
	v_cmp_lt_u64_e64 s[0:1], s[12:13], 56
	v_cmp_gt_u64_e64 s[16:17], s[12:13], 7
	s_and_b64 s[0:1], s[0:1], exec
	s_cselect_b32 s15, s13, 0
	s_cselect_b32 s14, s12, 56
	s_add_u32 s0, s2, 8
	s_addc_u32 s1, s3, 0
	s_and_b64 vcc, exec, s[16:17]
	s_cbranch_vccnz .LBB3_252
; %bb.249:                              ;   in Loop: Header=BB3_248 Depth=1
	s_cmp_eq_u64 s[12:13], 0
	s_cbranch_scc1 .LBB3_253
; %bb.250:                              ;   in Loop: Header=BB3_248 Depth=1
	v_mov_b32_e32 v4, 0
	s_lshl_b64 s[0:1], s[14:15], 3
	s_mov_b64 s[16:17], 0
	v_mov_b32_e32 v5, 0
	s_mov_b64 s[18:19], s[2:3]
.LBB3_251:                              ;   Parent Loop BB3_248 Depth=1
                                        ; =>  This Inner Loop Header: Depth=2
	global_load_ubyte v6, v28, s[18:19]
	s_waitcnt vmcnt(0)
	v_and_b32_e32 v27, 0xffff, v6
	v_lshlrev_b64 v[6:7], s16, v[27:28]
	s_add_u32 s16, s16, 8
	s_addc_u32 s17, s17, 0
	s_add_u32 s18, s18, 1
	s_addc_u32 s19, s19, 0
	v_or_b32_e32 v4, v6, v4
	s_cmp_lg_u32 s0, s16
	v_or_b32_e32 v5, v7, v5
	s_cbranch_scc1 .LBB3_251
	s_branch .LBB3_254
.LBB3_252:                              ;   in Loop: Header=BB3_248 Depth=1
	s_mov_b32 s20, 0
	s_branch .LBB3_255
.LBB3_253:                              ;   in Loop: Header=BB3_248 Depth=1
	v_mov_b32_e32 v4, 0
	v_mov_b32_e32 v5, 0
.LBB3_254:                              ;   in Loop: Header=BB3_248 Depth=1
	s_mov_b64 s[0:1], s[2:3]
	s_mov_b32 s20, 0
	s_cbranch_execnz .LBB3_256
.LBB3_255:                              ;   in Loop: Header=BB3_248 Depth=1
	global_load_dwordx2 v[4:5], v28, s[2:3]
	s_add_i32 s20, s14, -8
.LBB3_256:                              ;   in Loop: Header=BB3_248 Depth=1
	s_add_u32 s16, s0, 8
	s_addc_u32 s17, s1, 0
	s_cmp_gt_u32 s20, 7
	s_cbranch_scc1 .LBB3_260
; %bb.257:                              ;   in Loop: Header=BB3_248 Depth=1
	s_cmp_eq_u32 s20, 0
	s_cbranch_scc1 .LBB3_261
; %bb.258:                              ;   in Loop: Header=BB3_248 Depth=1
	v_mov_b32_e32 v10, 0
	s_mov_b64 s[16:17], 0
	v_mov_b32_e32 v11, 0
	s_mov_b64 s[18:19], 0
.LBB3_259:                              ;   Parent Loop BB3_248 Depth=1
                                        ; =>  This Inner Loop Header: Depth=2
	s_add_u32 s22, s0, s18
	s_addc_u32 s23, s1, s19
	global_load_ubyte v6, v28, s[22:23]
	s_add_u32 s18, s18, 1
	s_addc_u32 s19, s19, 0
	s_waitcnt vmcnt(0)
	v_and_b32_e32 v27, 0xffff, v6
	v_lshlrev_b64 v[6:7], s16, v[27:28]
	s_add_u32 s16, s16, 8
	s_addc_u32 s17, s17, 0
	v_or_b32_e32 v10, v6, v10
	s_cmp_lg_u32 s20, s18
	v_or_b32_e32 v11, v7, v11
	s_cbranch_scc1 .LBB3_259
	s_branch .LBB3_262
.LBB3_260:                              ;   in Loop: Header=BB3_248 Depth=1
                                        ; implicit-def: $vgpr10_vgpr11
	s_mov_b32 s21, 0
	s_branch .LBB3_263
.LBB3_261:                              ;   in Loop: Header=BB3_248 Depth=1
	v_mov_b32_e32 v10, 0
	v_mov_b32_e32 v11, 0
.LBB3_262:                              ;   in Loop: Header=BB3_248 Depth=1
	s_mov_b64 s[16:17], s[0:1]
	s_mov_b32 s21, 0
	s_cbranch_execnz .LBB3_264
.LBB3_263:                              ;   in Loop: Header=BB3_248 Depth=1
	global_load_dwordx2 v[10:11], v28, s[0:1]
	s_add_i32 s21, s20, -8
.LBB3_264:                              ;   in Loop: Header=BB3_248 Depth=1
	s_add_u32 s0, s16, 8
	s_addc_u32 s1, s17, 0
	s_cmp_gt_u32 s21, 7
	s_cbranch_scc1 .LBB3_268
; %bb.265:                              ;   in Loop: Header=BB3_248 Depth=1
	s_cmp_eq_u32 s21, 0
	s_cbranch_scc1 .LBB3_269
; %bb.266:                              ;   in Loop: Header=BB3_248 Depth=1
	v_mov_b32_e32 v12, 0
	s_mov_b64 s[0:1], 0
	v_mov_b32_e32 v13, 0
	s_mov_b64 s[18:19], 0
.LBB3_267:                              ;   Parent Loop BB3_248 Depth=1
                                        ; =>  This Inner Loop Header: Depth=2
	s_add_u32 s22, s16, s18
	s_addc_u32 s23, s17, s19
	global_load_ubyte v6, v28, s[22:23]
	s_add_u32 s18, s18, 1
	s_addc_u32 s19, s19, 0
	s_waitcnt vmcnt(0)
	v_and_b32_e32 v27, 0xffff, v6
	v_lshlrev_b64 v[6:7], s0, v[27:28]
	s_add_u32 s0, s0, 8
	s_addc_u32 s1, s1, 0
	v_or_b32_e32 v12, v6, v12
	s_cmp_lg_u32 s21, s18
	v_or_b32_e32 v13, v7, v13
	s_cbranch_scc1 .LBB3_267
	s_branch .LBB3_270
.LBB3_268:                              ;   in Loop: Header=BB3_248 Depth=1
	s_mov_b32 s20, 0
	s_branch .LBB3_271
.LBB3_269:                              ;   in Loop: Header=BB3_248 Depth=1
	v_mov_b32_e32 v12, 0
	v_mov_b32_e32 v13, 0
.LBB3_270:                              ;   in Loop: Header=BB3_248 Depth=1
	s_mov_b64 s[0:1], s[16:17]
	s_mov_b32 s20, 0
	s_cbranch_execnz .LBB3_272
.LBB3_271:                              ;   in Loop: Header=BB3_248 Depth=1
	global_load_dwordx2 v[12:13], v28, s[16:17]
	s_add_i32 s20, s21, -8
.LBB3_272:                              ;   in Loop: Header=BB3_248 Depth=1
	s_add_u32 s16, s0, 8
	s_addc_u32 s17, s1, 0
	s_cmp_gt_u32 s20, 7
	s_cbranch_scc1 .LBB3_276
; %bb.273:                              ;   in Loop: Header=BB3_248 Depth=1
	s_cmp_eq_u32 s20, 0
	s_cbranch_scc1 .LBB3_277
; %bb.274:                              ;   in Loop: Header=BB3_248 Depth=1
	v_mov_b32_e32 v14, 0
	s_mov_b64 s[16:17], 0
	v_mov_b32_e32 v15, 0
	s_mov_b64 s[18:19], 0
.LBB3_275:                              ;   Parent Loop BB3_248 Depth=1
                                        ; =>  This Inner Loop Header: Depth=2
	s_add_u32 s22, s0, s18
	s_addc_u32 s23, s1, s19
	global_load_ubyte v6, v28, s[22:23]
	s_add_u32 s18, s18, 1
	s_addc_u32 s19, s19, 0
	s_waitcnt vmcnt(0)
	v_and_b32_e32 v27, 0xffff, v6
	v_lshlrev_b64 v[6:7], s16, v[27:28]
	s_add_u32 s16, s16, 8
	s_addc_u32 s17, s17, 0
	v_or_b32_e32 v14, v6, v14
	s_cmp_lg_u32 s20, s18
	v_or_b32_e32 v15, v7, v15
	s_cbranch_scc1 .LBB3_275
	s_branch .LBB3_278
.LBB3_276:                              ;   in Loop: Header=BB3_248 Depth=1
                                        ; implicit-def: $vgpr14_vgpr15
	s_mov_b32 s21, 0
	s_branch .LBB3_279
.LBB3_277:                              ;   in Loop: Header=BB3_248 Depth=1
	v_mov_b32_e32 v14, 0
	v_mov_b32_e32 v15, 0
.LBB3_278:                              ;   in Loop: Header=BB3_248 Depth=1
	s_mov_b64 s[16:17], s[0:1]
	s_mov_b32 s21, 0
	s_cbranch_execnz .LBB3_280
.LBB3_279:                              ;   in Loop: Header=BB3_248 Depth=1
	global_load_dwordx2 v[14:15], v28, s[0:1]
	s_add_i32 s21, s20, -8
.LBB3_280:                              ;   in Loop: Header=BB3_248 Depth=1
	s_add_u32 s0, s16, 8
	s_addc_u32 s1, s17, 0
	s_cmp_gt_u32 s21, 7
	s_cbranch_scc1 .LBB3_284
; %bb.281:                              ;   in Loop: Header=BB3_248 Depth=1
	s_cmp_eq_u32 s21, 0
	s_cbranch_scc1 .LBB3_285
; %bb.282:                              ;   in Loop: Header=BB3_248 Depth=1
	v_mov_b32_e32 v16, 0
	s_mov_b64 s[0:1], 0
	v_mov_b32_e32 v17, 0
	s_mov_b64 s[18:19], 0
.LBB3_283:                              ;   Parent Loop BB3_248 Depth=1
                                        ; =>  This Inner Loop Header: Depth=2
	s_add_u32 s22, s16, s18
	s_addc_u32 s23, s17, s19
	global_load_ubyte v6, v28, s[22:23]
	s_add_u32 s18, s18, 1
	s_addc_u32 s19, s19, 0
	s_waitcnt vmcnt(0)
	v_and_b32_e32 v27, 0xffff, v6
	v_lshlrev_b64 v[6:7], s0, v[27:28]
	s_add_u32 s0, s0, 8
	s_addc_u32 s1, s1, 0
	v_or_b32_e32 v16, v6, v16
	s_cmp_lg_u32 s21, s18
	v_or_b32_e32 v17, v7, v17
	s_cbranch_scc1 .LBB3_283
	s_branch .LBB3_286
.LBB3_284:                              ;   in Loop: Header=BB3_248 Depth=1
	s_mov_b32 s20, 0
	s_branch .LBB3_287
.LBB3_285:                              ;   in Loop: Header=BB3_248 Depth=1
	v_mov_b32_e32 v16, 0
	v_mov_b32_e32 v17, 0
.LBB3_286:                              ;   in Loop: Header=BB3_248 Depth=1
	s_mov_b64 s[0:1], s[16:17]
	s_mov_b32 s20, 0
	s_cbranch_execnz .LBB3_288
.LBB3_287:                              ;   in Loop: Header=BB3_248 Depth=1
	global_load_dwordx2 v[16:17], v28, s[16:17]
	s_add_i32 s20, s21, -8
.LBB3_288:                              ;   in Loop: Header=BB3_248 Depth=1
	s_add_u32 s16, s0, 8
	s_addc_u32 s17, s1, 0
	s_cmp_gt_u32 s20, 7
	s_cbranch_scc1 .LBB3_292
; %bb.289:                              ;   in Loop: Header=BB3_248 Depth=1
	s_cmp_eq_u32 s20, 0
	s_cbranch_scc1 .LBB3_293
; %bb.290:                              ;   in Loop: Header=BB3_248 Depth=1
	v_mov_b32_e32 v18, 0
	s_mov_b64 s[16:17], 0
	v_mov_b32_e32 v19, 0
	s_mov_b64 s[18:19], 0
.LBB3_291:                              ;   Parent Loop BB3_248 Depth=1
                                        ; =>  This Inner Loop Header: Depth=2
	s_add_u32 s22, s0, s18
	s_addc_u32 s23, s1, s19
	global_load_ubyte v6, v28, s[22:23]
	s_add_u32 s18, s18, 1
	s_addc_u32 s19, s19, 0
	s_waitcnt vmcnt(0)
	v_and_b32_e32 v27, 0xffff, v6
	v_lshlrev_b64 v[6:7], s16, v[27:28]
	s_add_u32 s16, s16, 8
	s_addc_u32 s17, s17, 0
	v_or_b32_e32 v18, v6, v18
	s_cmp_lg_u32 s20, s18
	v_or_b32_e32 v19, v7, v19
	s_cbranch_scc1 .LBB3_291
	s_branch .LBB3_294
.LBB3_292:                              ;   in Loop: Header=BB3_248 Depth=1
                                        ; implicit-def: $vgpr18_vgpr19
	s_mov_b32 s21, 0
	s_branch .LBB3_295
.LBB3_293:                              ;   in Loop: Header=BB3_248 Depth=1
	v_mov_b32_e32 v18, 0
	v_mov_b32_e32 v19, 0
.LBB3_294:                              ;   in Loop: Header=BB3_248 Depth=1
	s_mov_b64 s[16:17], s[0:1]
	s_mov_b32 s21, 0
	s_cbranch_execnz .LBB3_296
.LBB3_295:                              ;   in Loop: Header=BB3_248 Depth=1
	global_load_dwordx2 v[18:19], v28, s[0:1]
	s_add_i32 s21, s20, -8
.LBB3_296:                              ;   in Loop: Header=BB3_248 Depth=1
	s_cmp_gt_u32 s21, 7
	s_cbranch_scc1 .LBB3_300
; %bb.297:                              ;   in Loop: Header=BB3_248 Depth=1
	s_cmp_eq_u32 s21, 0
	s_cbranch_scc1 .LBB3_301
; %bb.298:                              ;   in Loop: Header=BB3_248 Depth=1
	v_mov_b32_e32 v20, 0
	s_mov_b64 s[0:1], 0
	v_mov_b32_e32 v21, 0
	s_mov_b64 s[18:19], s[16:17]
.LBB3_299:                              ;   Parent Loop BB3_248 Depth=1
                                        ; =>  This Inner Loop Header: Depth=2
	global_load_ubyte v6, v28, s[18:19]
	s_add_i32 s21, s21, -1
	s_waitcnt vmcnt(0)
	v_and_b32_e32 v27, 0xffff, v6
	v_lshlrev_b64 v[6:7], s0, v[27:28]
	s_add_u32 s0, s0, 8
	s_addc_u32 s1, s1, 0
	s_add_u32 s18, s18, 1
	s_addc_u32 s19, s19, 0
	v_or_b32_e32 v20, v6, v20
	s_cmp_lg_u32 s21, 0
	v_or_b32_e32 v21, v7, v21
	s_cbranch_scc1 .LBB3_299
	s_branch .LBB3_302
.LBB3_300:                              ;   in Loop: Header=BB3_248 Depth=1
	s_branch .LBB3_303
.LBB3_301:                              ;   in Loop: Header=BB3_248 Depth=1
	v_mov_b32_e32 v20, 0
	v_mov_b32_e32 v21, 0
.LBB3_302:                              ;   in Loop: Header=BB3_248 Depth=1
	s_cbranch_execnz .LBB3_304
.LBB3_303:                              ;   in Loop: Header=BB3_248 Depth=1
	global_load_dwordx2 v[20:21], v28, s[16:17]
.LBB3_304:                              ;   in Loop: Header=BB3_248 Depth=1
	v_readfirstlane_b32 s0, v33
	v_mov_b32_e32 v6, 0
	v_mov_b32_e32 v7, 0
	v_cmp_eq_u32_e64 s[0:1], s0, v33
	s_and_saveexec_b64 s[16:17], s[0:1]
	s_cbranch_execz .LBB3_310
; %bb.305:                              ;   in Loop: Header=BB3_248 Depth=1
	global_load_dwordx2 v[24:25], v28, s[10:11] offset:24 glc
	s_waitcnt vmcnt(0)
	buffer_wbinvl1_vol
	global_load_dwordx2 v[6:7], v28, s[10:11] offset:40
	global_load_dwordx2 v[22:23], v28, s[10:11]
	s_waitcnt vmcnt(1)
	v_and_b32_e32 v6, v6, v24
	v_and_b32_e32 v7, v7, v25
	v_mul_lo_u32 v7, v7, 24
	v_mul_hi_u32 v27, v6, 24
	v_mul_lo_u32 v6, v6, 24
	v_add_u32_e32 v7, v27, v7
	s_waitcnt vmcnt(0)
	v_add_co_u32_e32 v6, vcc, v22, v6
	v_addc_co_u32_e32 v7, vcc, v23, v7, vcc
	global_load_dwordx2 v[22:23], v[6:7], off glc
	s_waitcnt vmcnt(0)
	global_atomic_cmpswap_x2 v[6:7], v28, v[22:25], s[10:11] offset:24 glc
	s_waitcnt vmcnt(0)
	buffer_wbinvl1_vol
	v_cmp_ne_u64_e32 vcc, v[6:7], v[24:25]
	s_and_saveexec_b64 s[18:19], vcc
	s_cbranch_execz .LBB3_309
; %bb.306:                              ;   in Loop: Header=BB3_248 Depth=1
	s_mov_b64 s[20:21], 0
.LBB3_307:                              ;   Parent Loop BB3_248 Depth=1
                                        ; =>  This Inner Loop Header: Depth=2
	s_sleep 1
	global_load_dwordx2 v[22:23], v28, s[10:11] offset:40
	global_load_dwordx2 v[29:30], v28, s[10:11]
	v_mov_b32_e32 v25, v7
	v_mov_b32_e32 v24, v6
	s_waitcnt vmcnt(1)
	v_and_b32_e32 v6, v22, v24
	s_waitcnt vmcnt(0)
	v_mad_u64_u32 v[6:7], s[22:23], v6, 24, v[29:30]
	v_and_b32_e32 v22, v23, v25
	v_mad_u64_u32 v[22:23], s[22:23], v22, 24, v[7:8]
	v_mov_b32_e32 v7, v22
	global_load_dwordx2 v[22:23], v[6:7], off glc
	s_waitcnt vmcnt(0)
	global_atomic_cmpswap_x2 v[6:7], v28, v[22:25], s[10:11] offset:24 glc
	s_waitcnt vmcnt(0)
	buffer_wbinvl1_vol
	v_cmp_eq_u64_e32 vcc, v[6:7], v[24:25]
	s_or_b64 s[20:21], vcc, s[20:21]
	s_andn2_b64 exec, exec, s[20:21]
	s_cbranch_execnz .LBB3_307
; %bb.308:                              ;   in Loop: Header=BB3_248 Depth=1
	s_or_b64 exec, exec, s[20:21]
.LBB3_309:                              ;   in Loop: Header=BB3_248 Depth=1
	s_or_b64 exec, exec, s[18:19]
.LBB3_310:                              ;   in Loop: Header=BB3_248 Depth=1
	s_or_b64 exec, exec, s[16:17]
	global_load_dwordx2 v[29:30], v28, s[10:11] offset:40
	global_load_dwordx4 v[22:25], v28, s[10:11]
	v_readfirstlane_b32 s17, v7
	v_readfirstlane_b32 s16, v6
	s_mov_b64 s[18:19], exec
	s_waitcnt vmcnt(1)
	v_readfirstlane_b32 s20, v29
	v_readfirstlane_b32 s21, v30
	s_and_b64 s[20:21], s[20:21], s[16:17]
	s_mul_i32 s22, s21, 24
	s_mul_hi_u32 s23, s20, 24
	s_mul_i32 s24, s20, 24
	s_add_i32 s22, s23, s22
	v_mov_b32_e32 v6, s22
	s_waitcnt vmcnt(0)
	v_add_co_u32_e32 v29, vcc, s24, v22
	v_addc_co_u32_e32 v30, vcc, v23, v6, vcc
	s_and_saveexec_b64 s[22:23], s[0:1]
	s_cbranch_execz .LBB3_312
; %bb.311:                              ;   in Loop: Header=BB3_248 Depth=1
	v_mov_b32_e32 v6, s18
	v_mov_b32_e32 v7, s19
	global_store_dwordx4 v[29:30], v[6:9], off offset:8
.LBB3_312:                              ;   in Loop: Header=BB3_248 Depth=1
	s_or_b64 exec, exec, s[22:23]
	s_lshl_b64 s[18:19], s[20:21], 12
	v_mov_b32_e32 v6, s19
	v_add_co_u32_e32 v24, vcc, s18, v24
	v_addc_co_u32_e32 v25, vcc, v25, v6, vcc
	v_cmp_lt_u64_e64 vcc, s[12:13], 57
	s_lshl_b32 s18, s14, 2
	v_cndmask_b32_e32 v6, 0, v34, vcc
	s_add_i32 s18, s18, 28
	v_and_b32_e32 v2, 0xffffff1f, v2
	s_and_b32 s18, s18, 0x1e0
	v_or_b32_e32 v2, v2, v6
	v_or_b32_e32 v2, s18, v2
	v_readfirstlane_b32 s18, v24
	v_readfirstlane_b32 s19, v25
	s_nop 4
	global_store_dwordx4 v32, v[2:5], s[18:19]
	global_store_dwordx4 v32, v[10:13], s[18:19] offset:16
	global_store_dwordx4 v32, v[14:17], s[18:19] offset:32
	;; [unrolled: 1-line block ×3, first 2 shown]
	s_and_saveexec_b64 s[18:19], s[0:1]
	s_cbranch_execz .LBB3_320
; %bb.313:                              ;   in Loop: Header=BB3_248 Depth=1
	global_load_dwordx2 v[12:13], v28, s[10:11] offset:32 glc
	global_load_dwordx2 v[2:3], v28, s[10:11] offset:40
	v_mov_b32_e32 v10, s16
	v_mov_b32_e32 v11, s17
	s_waitcnt vmcnt(0)
	v_readfirstlane_b32 s20, v2
	v_readfirstlane_b32 s21, v3
	s_and_b64 s[20:21], s[20:21], s[16:17]
	s_mul_i32 s21, s21, 24
	s_mul_hi_u32 s22, s20, 24
	s_mul_i32 s20, s20, 24
	s_add_i32 s21, s22, s21
	v_mov_b32_e32 v2, s21
	v_add_co_u32_e32 v6, vcc, s20, v22
	v_addc_co_u32_e32 v7, vcc, v23, v2, vcc
	global_store_dwordx2 v[6:7], v[12:13], off
	s_waitcnt vmcnt(0)
	global_atomic_cmpswap_x2 v[4:5], v28, v[10:13], s[10:11] offset:32 glc
	s_waitcnt vmcnt(0)
	v_cmp_ne_u64_e32 vcc, v[4:5], v[12:13]
	s_and_saveexec_b64 s[20:21], vcc
	s_cbranch_execz .LBB3_316
; %bb.314:                              ;   in Loop: Header=BB3_248 Depth=1
	s_mov_b64 s[22:23], 0
.LBB3_315:                              ;   Parent Loop BB3_248 Depth=1
                                        ; =>  This Inner Loop Header: Depth=2
	s_sleep 1
	global_store_dwordx2 v[6:7], v[4:5], off
	v_mov_b32_e32 v2, s16
	v_mov_b32_e32 v3, s17
	s_waitcnt vmcnt(0)
	global_atomic_cmpswap_x2 v[2:3], v28, v[2:5], s[10:11] offset:32 glc
	s_waitcnt vmcnt(0)
	v_cmp_eq_u64_e32 vcc, v[2:3], v[4:5]
	v_mov_b32_e32 v5, v3
	s_or_b64 s[22:23], vcc, s[22:23]
	v_mov_b32_e32 v4, v2
	s_andn2_b64 exec, exec, s[22:23]
	s_cbranch_execnz .LBB3_315
.LBB3_316:                              ;   in Loop: Header=BB3_248 Depth=1
	s_or_b64 exec, exec, s[20:21]
	global_load_dwordx2 v[2:3], v28, s[10:11] offset:16
	s_mov_b64 s[22:23], exec
	v_mbcnt_lo_u32_b32 v4, s22, 0
	v_mbcnt_hi_u32_b32 v4, s23, v4
	v_cmp_eq_u32_e32 vcc, 0, v4
	s_and_saveexec_b64 s[20:21], vcc
	s_cbranch_execz .LBB3_318
; %bb.317:                              ;   in Loop: Header=BB3_248 Depth=1
	s_bcnt1_i32_b64 s22, s[22:23]
	v_mov_b32_e32 v27, s22
	s_waitcnt vmcnt(0)
	global_atomic_add_x2 v[2:3], v[27:28], off offset:8
.LBB3_318:                              ;   in Loop: Header=BB3_248 Depth=1
	s_or_b64 exec, exec, s[20:21]
	s_waitcnt vmcnt(0)
	global_load_dwordx2 v[4:5], v[2:3], off offset:16
	s_waitcnt vmcnt(0)
	v_cmp_eq_u64_e32 vcc, 0, v[4:5]
	s_cbranch_vccnz .LBB3_320
; %bb.319:                              ;   in Loop: Header=BB3_248 Depth=1
	global_load_dword v27, v[2:3], off offset:24
	s_waitcnt vmcnt(0)
	v_readfirstlane_b32 s20, v27
	s_and_b32 m0, s20, 0xffffff
	global_store_dwordx2 v[4:5], v[27:28], off
	s_sendmsg sendmsg(MSG_INTERRUPT)
.LBB3_320:                              ;   in Loop: Header=BB3_248 Depth=1
	s_or_b64 exec, exec, s[18:19]
	v_add_co_u32_e32 v2, vcc, v24, v32
	v_addc_co_u32_e32 v3, vcc, 0, v25, vcc
	s_branch .LBB3_324
.LBB3_321:                              ;   in Loop: Header=BB3_324 Depth=2
	s_or_b64 exec, exec, s[18:19]
	v_readfirstlane_b32 s18, v4
	s_cmp_eq_u32 s18, 0
	s_cbranch_scc1 .LBB3_323
; %bb.322:                              ;   in Loop: Header=BB3_324 Depth=2
	s_sleep 1
	s_cbranch_execnz .LBB3_324
	s_branch .LBB3_326
.LBB3_323:                              ;   in Loop: Header=BB3_248 Depth=1
	s_branch .LBB3_326
.LBB3_324:                              ;   Parent Loop BB3_248 Depth=1
                                        ; =>  This Inner Loop Header: Depth=2
	v_mov_b32_e32 v4, 1
	s_and_saveexec_b64 s[18:19], s[0:1]
	s_cbranch_execz .LBB3_321
; %bb.325:                              ;   in Loop: Header=BB3_324 Depth=2
	global_load_dword v4, v[29:30], off offset:20 glc
	s_waitcnt vmcnt(0)
	buffer_wbinvl1_vol
	v_and_b32_e32 v4, 1, v4
	s_branch .LBB3_321
.LBB3_326:                              ;   in Loop: Header=BB3_248 Depth=1
	global_load_dwordx2 v[2:3], v[2:3], off
	s_and_saveexec_b64 s[18:19], s[0:1]
	s_cbranch_execz .LBB3_247
; %bb.327:                              ;   in Loop: Header=BB3_248 Depth=1
	global_load_dwordx2 v[4:5], v28, s[10:11] offset:40
	global_load_dwordx2 v[14:15], v28, s[10:11] offset:24 glc
	global_load_dwordx2 v[6:7], v28, s[10:11]
	s_waitcnt vmcnt(2)
	v_readfirstlane_b32 s20, v4
	v_readfirstlane_b32 s21, v5
	s_add_u32 s22, s20, 1
	s_addc_u32 s23, s21, 0
	s_add_u32 s0, s22, s16
	s_addc_u32 s1, s23, s17
	s_cmp_eq_u64 s[0:1], 0
	s_cselect_b32 s1, s23, s1
	s_cselect_b32 s0, s22, s0
	s_and_b64 s[16:17], s[0:1], s[20:21]
	s_mul_i32 s17, s17, 24
	s_mul_hi_u32 s20, s16, 24
	s_mul_i32 s16, s16, 24
	s_add_i32 s17, s20, s17
	v_mov_b32_e32 v4, s17
	s_waitcnt vmcnt(0)
	v_add_co_u32_e32 v10, vcc, s16, v6
	v_addc_co_u32_e32 v11, vcc, v7, v4, vcc
	v_mov_b32_e32 v12, s0
	global_store_dwordx2 v[10:11], v[14:15], off
	v_mov_b32_e32 v13, s1
	s_waitcnt vmcnt(0)
	global_atomic_cmpswap_x2 v[6:7], v28, v[12:15], s[10:11] offset:24 glc
	s_waitcnt vmcnt(0)
	v_cmp_ne_u64_e32 vcc, v[6:7], v[14:15]
	s_and_b64 exec, exec, vcc
	s_cbranch_execz .LBB3_247
; %bb.328:                              ;   in Loop: Header=BB3_248 Depth=1
	s_mov_b64 s[16:17], 0
.LBB3_329:                              ;   Parent Loop BB3_248 Depth=1
                                        ; =>  This Inner Loop Header: Depth=2
	s_sleep 1
	global_store_dwordx2 v[10:11], v[6:7], off
	v_mov_b32_e32 v4, s0
	v_mov_b32_e32 v5, s1
	s_waitcnt vmcnt(0)
	global_atomic_cmpswap_x2 v[4:5], v28, v[4:7], s[10:11] offset:24 glc
	s_waitcnt vmcnt(0)
	v_cmp_eq_u64_e32 vcc, v[4:5], v[6:7]
	v_mov_b32_e32 v7, v5
	s_or_b64 s[16:17], vcc, s[16:17]
	v_mov_b32_e32 v6, v4
	s_andn2_b64 exec, exec, s[16:17]
	s_cbranch_execnz .LBB3_329
	s_branch .LBB3_247
.LBB3_330:
	s_branch .LBB3_358
.LBB3_331:
                                        ; implicit-def: $vgpr2_vgpr3
	s_cbranch_execz .LBB3_358
; %bb.332:
	v_readfirstlane_b32 s0, v33
	v_mov_b32_e32 v8, 0
	v_mov_b32_e32 v9, 0
	v_cmp_eq_u32_e64 s[0:1], s0, v33
	s_and_saveexec_b64 s[2:3], s[0:1]
	s_cbranch_execz .LBB3_338
; %bb.333:
	s_waitcnt vmcnt(0)
	v_mov_b32_e32 v2, 0
	global_load_dwordx2 v[5:6], v2, s[10:11] offset:24 glc
	s_waitcnt vmcnt(0)
	buffer_wbinvl1_vol
	global_load_dwordx2 v[3:4], v2, s[10:11] offset:40
	global_load_dwordx2 v[7:8], v2, s[10:11]
	s_waitcnt vmcnt(1)
	v_and_b32_e32 v3, v3, v5
	v_and_b32_e32 v4, v4, v6
	v_mul_lo_u32 v4, v4, 24
	v_mul_hi_u32 v9, v3, 24
	v_mul_lo_u32 v3, v3, 24
	v_add_u32_e32 v4, v9, v4
	s_waitcnt vmcnt(0)
	v_add_co_u32_e32 v3, vcc, v7, v3
	v_addc_co_u32_e32 v4, vcc, v8, v4, vcc
	global_load_dwordx2 v[3:4], v[3:4], off glc
	s_waitcnt vmcnt(0)
	global_atomic_cmpswap_x2 v[8:9], v2, v[3:6], s[10:11] offset:24 glc
	s_waitcnt vmcnt(0)
	buffer_wbinvl1_vol
	v_cmp_ne_u64_e32 vcc, v[8:9], v[5:6]
	s_and_saveexec_b64 s[12:13], vcc
	s_cbranch_execz .LBB3_337
; %bb.334:
	s_mov_b64 s[14:15], 0
.LBB3_335:                              ; =>This Inner Loop Header: Depth=1
	s_sleep 1
	global_load_dwordx2 v[3:4], v2, s[10:11] offset:40
	global_load_dwordx2 v[10:11], v2, s[10:11]
	v_mov_b32_e32 v5, v8
	v_mov_b32_e32 v6, v9
	s_waitcnt vmcnt(1)
	v_and_b32_e32 v3, v3, v5
	s_waitcnt vmcnt(0)
	v_mad_u64_u32 v[7:8], s[16:17], v3, 24, v[10:11]
	v_and_b32_e32 v4, v4, v6
	v_mov_b32_e32 v3, v8
	v_mad_u64_u32 v[3:4], s[16:17], v4, 24, v[3:4]
	v_mov_b32_e32 v8, v3
	global_load_dwordx2 v[3:4], v[7:8], off glc
	s_waitcnt vmcnt(0)
	global_atomic_cmpswap_x2 v[8:9], v2, v[3:6], s[10:11] offset:24 glc
	s_waitcnt vmcnt(0)
	buffer_wbinvl1_vol
	v_cmp_eq_u64_e32 vcc, v[8:9], v[5:6]
	s_or_b64 s[14:15], vcc, s[14:15]
	s_andn2_b64 exec, exec, s[14:15]
	s_cbranch_execnz .LBB3_335
; %bb.336:
	s_or_b64 exec, exec, s[14:15]
.LBB3_337:
	s_or_b64 exec, exec, s[12:13]
.LBB3_338:
	s_or_b64 exec, exec, s[2:3]
	s_waitcnt vmcnt(0)
	v_mov_b32_e32 v2, 0
	global_load_dwordx2 v[10:11], v2, s[10:11] offset:40
	global_load_dwordx4 v[4:7], v2, s[10:11]
	v_readfirstlane_b32 s3, v9
	v_readfirstlane_b32 s2, v8
	s_mov_b64 s[12:13], exec
	s_waitcnt vmcnt(1)
	v_readfirstlane_b32 s14, v10
	v_readfirstlane_b32 s15, v11
	s_and_b64 s[14:15], s[14:15], s[2:3]
	s_mul_i32 s16, s15, 24
	s_mul_hi_u32 s17, s14, 24
	s_mul_i32 s18, s14, 24
	s_add_i32 s16, s17, s16
	v_mov_b32_e32 v3, s16
	s_waitcnt vmcnt(0)
	v_add_co_u32_e32 v8, vcc, s18, v4
	v_addc_co_u32_e32 v9, vcc, v5, v3, vcc
	s_and_saveexec_b64 s[16:17], s[0:1]
	s_cbranch_execz .LBB3_340
; %bb.339:
	v_mov_b32_e32 v10, s12
	v_mov_b32_e32 v11, s13
	;; [unrolled: 1-line block ×4, first 2 shown]
	global_store_dwordx4 v[8:9], v[10:13], off offset:8
.LBB3_340:
	s_or_b64 exec, exec, s[16:17]
	s_lshl_b64 s[12:13], s[14:15], 12
	v_mov_b32_e32 v3, s13
	v_add_co_u32_e32 v10, vcc, s12, v6
	v_addc_co_u32_e32 v11, vcc, v7, v3, vcc
	s_movk_i32 s12, 0xff1f
	v_and_or_b32 v0, v0, s12, 32
	s_mov_b32 s12, 0
	v_mov_b32_e32 v3, v2
	v_readfirstlane_b32 s16, v10
	v_readfirstlane_b32 s17, v11
	v_add_co_u32_e32 v6, vcc, v10, v32
	s_mov_b32 s13, s12
	s_mov_b32 s14, s12
	;; [unrolled: 1-line block ×3, first 2 shown]
	s_nop 0
	global_store_dwordx4 v32, v[0:3], s[16:17]
	v_addc_co_u32_e32 v7, vcc, 0, v11, vcc
	v_mov_b32_e32 v0, s12
	v_mov_b32_e32 v1, s13
	;; [unrolled: 1-line block ×4, first 2 shown]
	global_store_dwordx4 v32, v[0:3], s[16:17] offset:16
	global_store_dwordx4 v32, v[0:3], s[16:17] offset:32
	;; [unrolled: 1-line block ×3, first 2 shown]
	s_and_saveexec_b64 s[12:13], s[0:1]
	s_cbranch_execz .LBB3_348
; %bb.341:
	v_mov_b32_e32 v10, 0
	global_load_dwordx2 v[13:14], v10, s[10:11] offset:32 glc
	global_load_dwordx2 v[0:1], v10, s[10:11] offset:40
	v_mov_b32_e32 v11, s2
	v_mov_b32_e32 v12, s3
	s_waitcnt vmcnt(0)
	v_readfirstlane_b32 s14, v0
	v_readfirstlane_b32 s15, v1
	s_and_b64 s[14:15], s[14:15], s[2:3]
	s_mul_i32 s15, s15, 24
	s_mul_hi_u32 s16, s14, 24
	s_mul_i32 s14, s14, 24
	s_add_i32 s15, s16, s15
	v_mov_b32_e32 v0, s15
	v_add_co_u32_e32 v4, vcc, s14, v4
	v_addc_co_u32_e32 v5, vcc, v5, v0, vcc
	global_store_dwordx2 v[4:5], v[13:14], off
	s_waitcnt vmcnt(0)
	global_atomic_cmpswap_x2 v[2:3], v10, v[11:14], s[10:11] offset:32 glc
	s_waitcnt vmcnt(0)
	v_cmp_ne_u64_e32 vcc, v[2:3], v[13:14]
	s_and_saveexec_b64 s[14:15], vcc
	s_cbranch_execz .LBB3_344
; %bb.342:
	s_mov_b64 s[16:17], 0
.LBB3_343:                              ; =>This Inner Loop Header: Depth=1
	s_sleep 1
	global_store_dwordx2 v[4:5], v[2:3], off
	v_mov_b32_e32 v0, s2
	v_mov_b32_e32 v1, s3
	s_waitcnt vmcnt(0)
	global_atomic_cmpswap_x2 v[0:1], v10, v[0:3], s[10:11] offset:32 glc
	s_waitcnt vmcnt(0)
	v_cmp_eq_u64_e32 vcc, v[0:1], v[2:3]
	v_mov_b32_e32 v3, v1
	s_or_b64 s[16:17], vcc, s[16:17]
	v_mov_b32_e32 v2, v0
	s_andn2_b64 exec, exec, s[16:17]
	s_cbranch_execnz .LBB3_343
.LBB3_344:
	s_or_b64 exec, exec, s[14:15]
	v_mov_b32_e32 v3, 0
	global_load_dwordx2 v[0:1], v3, s[10:11] offset:16
	s_mov_b64 s[14:15], exec
	v_mbcnt_lo_u32_b32 v2, s14, 0
	v_mbcnt_hi_u32_b32 v2, s15, v2
	v_cmp_eq_u32_e32 vcc, 0, v2
	s_and_saveexec_b64 s[16:17], vcc
	s_cbranch_execz .LBB3_346
; %bb.345:
	s_bcnt1_i32_b64 s14, s[14:15]
	v_mov_b32_e32 v2, s14
	s_waitcnt vmcnt(0)
	global_atomic_add_x2 v[0:1], v[2:3], off offset:8
.LBB3_346:
	s_or_b64 exec, exec, s[16:17]
	s_waitcnt vmcnt(0)
	global_load_dwordx2 v[2:3], v[0:1], off offset:16
	s_waitcnt vmcnt(0)
	v_cmp_eq_u64_e32 vcc, 0, v[2:3]
	s_cbranch_vccnz .LBB3_348
; %bb.347:
	global_load_dword v0, v[0:1], off offset:24
	v_mov_b32_e32 v1, 0
	s_waitcnt vmcnt(0)
	v_readfirstlane_b32 s14, v0
	s_and_b32 m0, s14, 0xffffff
	global_store_dwordx2 v[2:3], v[0:1], off
	s_sendmsg sendmsg(MSG_INTERRUPT)
.LBB3_348:
	s_or_b64 exec, exec, s[12:13]
	s_branch .LBB3_352
.LBB3_349:                              ;   in Loop: Header=BB3_352 Depth=1
	s_or_b64 exec, exec, s[12:13]
	v_readfirstlane_b32 s12, v0
	s_cmp_eq_u32 s12, 0
	s_cbranch_scc1 .LBB3_351
; %bb.350:                              ;   in Loop: Header=BB3_352 Depth=1
	s_sleep 1
	s_cbranch_execnz .LBB3_352
	s_branch .LBB3_354
.LBB3_351:
	s_branch .LBB3_354
.LBB3_352:                              ; =>This Inner Loop Header: Depth=1
	v_mov_b32_e32 v0, 1
	s_and_saveexec_b64 s[12:13], s[0:1]
	s_cbranch_execz .LBB3_349
; %bb.353:                              ;   in Loop: Header=BB3_352 Depth=1
	global_load_dword v0, v[8:9], off offset:20 glc
	s_waitcnt vmcnt(0)
	buffer_wbinvl1_vol
	v_and_b32_e32 v0, 1, v0
	s_branch .LBB3_349
.LBB3_354:
	global_load_dwordx2 v[2:3], v[6:7], off
	s_and_saveexec_b64 s[12:13], s[0:1]
	s_cbranch_execz .LBB3_357
; %bb.355:
	v_mov_b32_e32 v8, 0
	global_load_dwordx2 v[0:1], v8, s[10:11] offset:40
	global_load_dwordx2 v[11:12], v8, s[10:11] offset:24 glc
	global_load_dwordx2 v[4:5], v8, s[10:11]
	s_waitcnt vmcnt(2)
	v_readfirstlane_b32 s14, v0
	v_readfirstlane_b32 s15, v1
	s_add_u32 s16, s14, 1
	s_addc_u32 s17, s15, 0
	s_add_u32 s0, s16, s2
	s_addc_u32 s1, s17, s3
	s_cmp_eq_u64 s[0:1], 0
	s_cselect_b32 s1, s17, s1
	s_cselect_b32 s0, s16, s0
	s_and_b64 s[2:3], s[0:1], s[14:15]
	s_mul_i32 s3, s3, 24
	s_mul_hi_u32 s14, s2, 24
	s_mul_i32 s2, s2, 24
	s_add_i32 s3, s14, s3
	v_mov_b32_e32 v1, s3
	s_waitcnt vmcnt(0)
	v_add_co_u32_e32 v0, vcc, s2, v4
	v_addc_co_u32_e32 v1, vcc, v5, v1, vcc
	v_mov_b32_e32 v9, s0
	global_store_dwordx2 v[0:1], v[11:12], off
	v_mov_b32_e32 v10, s1
	s_waitcnt vmcnt(0)
	global_atomic_cmpswap_x2 v[6:7], v8, v[9:12], s[10:11] offset:24 glc
	s_mov_b64 s[2:3], 0
	s_waitcnt vmcnt(0)
	v_cmp_ne_u64_e32 vcc, v[6:7], v[11:12]
	s_and_b64 exec, exec, vcc
	s_cbranch_execz .LBB3_357
.LBB3_356:                              ; =>This Inner Loop Header: Depth=1
	s_sleep 1
	global_store_dwordx2 v[0:1], v[6:7], off
	v_mov_b32_e32 v4, s0
	v_mov_b32_e32 v5, s1
	s_waitcnt vmcnt(0)
	global_atomic_cmpswap_x2 v[4:5], v8, v[4:7], s[10:11] offset:24 glc
	s_waitcnt vmcnt(0)
	v_cmp_eq_u64_e32 vcc, v[4:5], v[6:7]
	v_mov_b32_e32 v7, v5
	s_or_b64 s[2:3], vcc, s[2:3]
	v_mov_b32_e32 v6, v4
	s_andn2_b64 exec, exec, s[2:3]
	s_cbranch_execnz .LBB3_356
.LBB3_357:
	s_or_b64 exec, exec, s[12:13]
.LBB3_358:
	v_readfirstlane_b32 s0, v33
	s_waitcnt vmcnt(0)
	v_mov_b32_e32 v0, 0
	v_mov_b32_e32 v1, 0
	v_cmp_eq_u32_e64 s[0:1], s0, v33
	s_and_saveexec_b64 s[2:3], s[0:1]
	s_cbranch_execz .LBB3_364
; %bb.359:
	v_mov_b32_e32 v4, 0
	global_load_dwordx2 v[7:8], v4, s[10:11] offset:24 glc
	s_waitcnt vmcnt(0)
	buffer_wbinvl1_vol
	global_load_dwordx2 v[0:1], v4, s[10:11] offset:40
	global_load_dwordx2 v[5:6], v4, s[10:11]
	s_waitcnt vmcnt(1)
	v_and_b32_e32 v0, v0, v7
	v_and_b32_e32 v1, v1, v8
	v_mul_lo_u32 v1, v1, 24
	v_mul_hi_u32 v9, v0, 24
	v_mul_lo_u32 v0, v0, 24
	v_add_u32_e32 v1, v9, v1
	s_waitcnt vmcnt(0)
	v_add_co_u32_e32 v0, vcc, v5, v0
	v_addc_co_u32_e32 v1, vcc, v6, v1, vcc
	global_load_dwordx2 v[5:6], v[0:1], off glc
	s_waitcnt vmcnt(0)
	global_atomic_cmpswap_x2 v[0:1], v4, v[5:8], s[10:11] offset:24 glc
	s_waitcnt vmcnt(0)
	buffer_wbinvl1_vol
	v_cmp_ne_u64_e32 vcc, v[0:1], v[7:8]
	s_and_saveexec_b64 s[12:13], vcc
	s_cbranch_execz .LBB3_363
; %bb.360:
	s_mov_b64 s[14:15], 0
.LBB3_361:                              ; =>This Inner Loop Header: Depth=1
	s_sleep 1
	global_load_dwordx2 v[5:6], v4, s[10:11] offset:40
	global_load_dwordx2 v[9:10], v4, s[10:11]
	v_mov_b32_e32 v8, v1
	v_mov_b32_e32 v7, v0
	s_waitcnt vmcnt(1)
	v_and_b32_e32 v0, v5, v7
	s_waitcnt vmcnt(0)
	v_mad_u64_u32 v[0:1], s[16:17], v0, 24, v[9:10]
	v_and_b32_e32 v5, v6, v8
	v_mad_u64_u32 v[5:6], s[16:17], v5, 24, v[1:2]
	v_mov_b32_e32 v1, v5
	global_load_dwordx2 v[5:6], v[0:1], off glc
	s_waitcnt vmcnt(0)
	global_atomic_cmpswap_x2 v[0:1], v4, v[5:8], s[10:11] offset:24 glc
	s_waitcnt vmcnt(0)
	buffer_wbinvl1_vol
	v_cmp_eq_u64_e32 vcc, v[0:1], v[7:8]
	s_or_b64 s[14:15], vcc, s[14:15]
	s_andn2_b64 exec, exec, s[14:15]
	s_cbranch_execnz .LBB3_361
; %bb.362:
	s_or_b64 exec, exec, s[14:15]
.LBB3_363:
	s_or_b64 exec, exec, s[12:13]
.LBB3_364:
	s_or_b64 exec, exec, s[2:3]
	v_mov_b32_e32 v5, 0
	global_load_dwordx2 v[10:11], v5, s[10:11] offset:40
	global_load_dwordx4 v[6:9], v5, s[10:11]
	v_readfirstlane_b32 s3, v1
	v_readfirstlane_b32 s2, v0
	s_mov_b64 s[12:13], exec
	s_waitcnt vmcnt(1)
	v_readfirstlane_b32 s14, v10
	v_readfirstlane_b32 s15, v11
	s_and_b64 s[14:15], s[14:15], s[2:3]
	s_mul_i32 s16, s15, 24
	s_mul_hi_u32 s17, s14, 24
	s_mul_i32 s18, s14, 24
	s_add_i32 s16, s17, s16
	v_mov_b32_e32 v0, s16
	s_waitcnt vmcnt(0)
	v_add_co_u32_e32 v10, vcc, s18, v6
	v_addc_co_u32_e32 v11, vcc, v7, v0, vcc
	s_and_saveexec_b64 s[16:17], s[0:1]
	s_cbranch_execz .LBB3_366
; %bb.365:
	v_mov_b32_e32 v12, s12
	v_mov_b32_e32 v13, s13
	;; [unrolled: 1-line block ×4, first 2 shown]
	global_store_dwordx4 v[10:11], v[12:15], off offset:8
.LBB3_366:
	s_or_b64 exec, exec, s[16:17]
	s_lshl_b64 s[12:13], s[14:15], 12
	v_mov_b32_e32 v0, s13
	v_add_co_u32_e32 v1, vcc, s12, v8
	v_addc_co_u32_e32 v0, vcc, v9, v0, vcc
	s_lshr_b32 s13, s26, 2
	s_movk_i32 s14, 0xff1f
	s_mov_b32 s12, 0
	v_and_or_b32 v2, v2, s14, 32
	v_add_co_u32_e32 v8, vcc, v1, v32
	v_mov_b32_e32 v4, s13
	v_readfirstlane_b32 s16, v1
	v_readfirstlane_b32 s17, v0
	v_addc_co_u32_e32 v9, vcc, 0, v0, vcc
	s_mov_b32 s13, s12
	s_mov_b32 s14, s12
	;; [unrolled: 1-line block ×3, first 2 shown]
	s_nop 0
	global_store_dwordx4 v32, v[2:5], s[16:17]
	v_mov_b32_e32 v0, s12
	v_mov_b32_e32 v1, s13
	;; [unrolled: 1-line block ×4, first 2 shown]
	global_store_dwordx4 v32, v[0:3], s[16:17] offset:16
	global_store_dwordx4 v32, v[0:3], s[16:17] offset:32
	;; [unrolled: 1-line block ×3, first 2 shown]
	s_and_saveexec_b64 s[12:13], s[0:1]
	s_cbranch_execz .LBB3_374
; %bb.367:
	v_mov_b32_e32 v12, 0
	global_load_dwordx2 v[15:16], v12, s[10:11] offset:32 glc
	global_load_dwordx2 v[0:1], v12, s[10:11] offset:40
	v_mov_b32_e32 v13, s2
	v_mov_b32_e32 v14, s3
	s_waitcnt vmcnt(0)
	v_readfirstlane_b32 s14, v0
	v_readfirstlane_b32 s15, v1
	s_and_b64 s[14:15], s[14:15], s[2:3]
	s_mul_i32 s15, s15, 24
	s_mul_hi_u32 s16, s14, 24
	s_mul_i32 s14, s14, 24
	s_add_i32 s15, s16, s15
	v_mov_b32_e32 v0, s15
	v_add_co_u32_e32 v4, vcc, s14, v6
	v_addc_co_u32_e32 v5, vcc, v7, v0, vcc
	global_store_dwordx2 v[4:5], v[15:16], off
	s_waitcnt vmcnt(0)
	global_atomic_cmpswap_x2 v[2:3], v12, v[13:16], s[10:11] offset:32 glc
	s_waitcnt vmcnt(0)
	v_cmp_ne_u64_e32 vcc, v[2:3], v[15:16]
	s_and_saveexec_b64 s[14:15], vcc
	s_cbranch_execz .LBB3_370
; %bb.368:
	s_mov_b64 s[16:17], 0
.LBB3_369:                              ; =>This Inner Loop Header: Depth=1
	s_sleep 1
	global_store_dwordx2 v[4:5], v[2:3], off
	v_mov_b32_e32 v0, s2
	v_mov_b32_e32 v1, s3
	s_waitcnt vmcnt(0)
	global_atomic_cmpswap_x2 v[0:1], v12, v[0:3], s[10:11] offset:32 glc
	s_waitcnt vmcnt(0)
	v_cmp_eq_u64_e32 vcc, v[0:1], v[2:3]
	v_mov_b32_e32 v3, v1
	s_or_b64 s[16:17], vcc, s[16:17]
	v_mov_b32_e32 v2, v0
	s_andn2_b64 exec, exec, s[16:17]
	s_cbranch_execnz .LBB3_369
.LBB3_370:
	s_or_b64 exec, exec, s[14:15]
	v_mov_b32_e32 v3, 0
	global_load_dwordx2 v[0:1], v3, s[10:11] offset:16
	s_mov_b64 s[14:15], exec
	v_mbcnt_lo_u32_b32 v2, s14, 0
	v_mbcnt_hi_u32_b32 v2, s15, v2
	v_cmp_eq_u32_e32 vcc, 0, v2
	s_and_saveexec_b64 s[16:17], vcc
	s_cbranch_execz .LBB3_372
; %bb.371:
	s_bcnt1_i32_b64 s14, s[14:15]
	v_mov_b32_e32 v2, s14
	s_waitcnt vmcnt(0)
	global_atomic_add_x2 v[0:1], v[2:3], off offset:8
.LBB3_372:
	s_or_b64 exec, exec, s[16:17]
	s_waitcnt vmcnt(0)
	global_load_dwordx2 v[2:3], v[0:1], off offset:16
	s_waitcnt vmcnt(0)
	v_cmp_eq_u64_e32 vcc, 0, v[2:3]
	s_cbranch_vccnz .LBB3_374
; %bb.373:
	global_load_dword v0, v[0:1], off offset:24
	v_mov_b32_e32 v1, 0
	s_waitcnt vmcnt(0)
	v_readfirstlane_b32 s14, v0
	s_and_b32 m0, s14, 0xffffff
	global_store_dwordx2 v[2:3], v[0:1], off
	s_sendmsg sendmsg(MSG_INTERRUPT)
.LBB3_374:
	s_or_b64 exec, exec, s[12:13]
	s_branch .LBB3_378
.LBB3_375:                              ;   in Loop: Header=BB3_378 Depth=1
	s_or_b64 exec, exec, s[12:13]
	v_readfirstlane_b32 s12, v0
	s_cmp_eq_u32 s12, 0
	s_cbranch_scc1 .LBB3_377
; %bb.376:                              ;   in Loop: Header=BB3_378 Depth=1
	s_sleep 1
	s_cbranch_execnz .LBB3_378
	s_branch .LBB3_380
.LBB3_377:
	s_branch .LBB3_380
.LBB3_378:                              ; =>This Inner Loop Header: Depth=1
	v_mov_b32_e32 v0, 1
	s_and_saveexec_b64 s[12:13], s[0:1]
	s_cbranch_execz .LBB3_375
; %bb.379:                              ;   in Loop: Header=BB3_378 Depth=1
	global_load_dword v0, v[10:11], off offset:20 glc
	s_waitcnt vmcnt(0)
	buffer_wbinvl1_vol
	v_and_b32_e32 v0, 1, v0
	s_branch .LBB3_375
.LBB3_380:
	global_load_dwordx2 v[0:1], v[8:9], off
	s_and_saveexec_b64 s[12:13], s[0:1]
	s_cbranch_execz .LBB3_383
; %bb.381:
	v_mov_b32_e32 v8, 0
	global_load_dwordx2 v[2:3], v8, s[10:11] offset:40
	global_load_dwordx2 v[11:12], v8, s[10:11] offset:24 glc
	global_load_dwordx2 v[4:5], v8, s[10:11]
	s_waitcnt vmcnt(2)
	v_readfirstlane_b32 s14, v2
	v_readfirstlane_b32 s15, v3
	s_add_u32 s16, s14, 1
	s_addc_u32 s17, s15, 0
	s_add_u32 s0, s16, s2
	s_addc_u32 s1, s17, s3
	s_cmp_eq_u64 s[0:1], 0
	s_cselect_b32 s1, s17, s1
	s_cselect_b32 s0, s16, s0
	s_and_b64 s[2:3], s[0:1], s[14:15]
	s_mul_i32 s3, s3, 24
	s_mul_hi_u32 s14, s2, 24
	s_mul_i32 s2, s2, 24
	s_add_i32 s3, s14, s3
	v_mov_b32_e32 v2, s3
	s_waitcnt vmcnt(0)
	v_add_co_u32_e32 v6, vcc, s2, v4
	v_addc_co_u32_e32 v7, vcc, v5, v2, vcc
	v_mov_b32_e32 v9, s0
	global_store_dwordx2 v[6:7], v[11:12], off
	v_mov_b32_e32 v10, s1
	s_waitcnt vmcnt(0)
	global_atomic_cmpswap_x2 v[4:5], v8, v[9:12], s[10:11] offset:24 glc
	s_mov_b64 s[2:3], 0
	s_waitcnt vmcnt(0)
	v_cmp_ne_u64_e32 vcc, v[4:5], v[11:12]
	s_and_b64 exec, exec, vcc
	s_cbranch_execz .LBB3_383
.LBB3_382:                              ; =>This Inner Loop Header: Depth=1
	s_sleep 1
	global_store_dwordx2 v[6:7], v[4:5], off
	v_mov_b32_e32 v2, s0
	v_mov_b32_e32 v3, s1
	s_waitcnt vmcnt(0)
	global_atomic_cmpswap_x2 v[2:3], v8, v[2:5], s[10:11] offset:24 glc
	s_waitcnt vmcnt(0)
	v_cmp_eq_u64_e32 vcc, v[2:3], v[4:5]
	v_mov_b32_e32 v5, v3
	s_or_b64 s[2:3], vcc, s[2:3]
	v_mov_b32_e32 v4, v2
	s_andn2_b64 exec, exec, s[2:3]
	s_cbranch_execnz .LBB3_382
.LBB3_383:
	s_or_b64 exec, exec, s[12:13]
	v_readfirstlane_b32 s0, v33
	v_mov_b32_e32 v8, 0
	v_mov_b32_e32 v9, 0
	v_cmp_eq_u32_e64 s[0:1], s0, v33
	s_and_saveexec_b64 s[2:3], s[0:1]
	s_cbranch_execz .LBB3_389
; %bb.384:
	v_mov_b32_e32 v2, 0
	global_load_dwordx2 v[5:6], v2, s[10:11] offset:24 glc
	s_waitcnt vmcnt(0)
	buffer_wbinvl1_vol
	global_load_dwordx2 v[3:4], v2, s[10:11] offset:40
	global_load_dwordx2 v[7:8], v2, s[10:11]
	s_waitcnt vmcnt(1)
	v_and_b32_e32 v3, v3, v5
	v_and_b32_e32 v4, v4, v6
	v_mul_lo_u32 v4, v4, 24
	v_mul_hi_u32 v9, v3, 24
	v_mul_lo_u32 v3, v3, 24
	v_add_u32_e32 v4, v9, v4
	s_waitcnt vmcnt(0)
	v_add_co_u32_e32 v3, vcc, v7, v3
	v_addc_co_u32_e32 v4, vcc, v8, v4, vcc
	global_load_dwordx2 v[3:4], v[3:4], off glc
	s_waitcnt vmcnt(0)
	global_atomic_cmpswap_x2 v[8:9], v2, v[3:6], s[10:11] offset:24 glc
	s_waitcnt vmcnt(0)
	buffer_wbinvl1_vol
	v_cmp_ne_u64_e32 vcc, v[8:9], v[5:6]
	s_and_saveexec_b64 s[12:13], vcc
	s_cbranch_execz .LBB3_388
; %bb.385:
	s_mov_b64 s[14:15], 0
.LBB3_386:                              ; =>This Inner Loop Header: Depth=1
	s_sleep 1
	global_load_dwordx2 v[3:4], v2, s[10:11] offset:40
	global_load_dwordx2 v[10:11], v2, s[10:11]
	v_mov_b32_e32 v5, v8
	v_mov_b32_e32 v6, v9
	s_waitcnt vmcnt(1)
	v_and_b32_e32 v3, v3, v5
	s_waitcnt vmcnt(0)
	v_mad_u64_u32 v[7:8], s[16:17], v3, 24, v[10:11]
	v_and_b32_e32 v4, v4, v6
	v_mov_b32_e32 v3, v8
	v_mad_u64_u32 v[3:4], s[16:17], v4, 24, v[3:4]
	v_mov_b32_e32 v8, v3
	global_load_dwordx2 v[3:4], v[7:8], off glc
	s_waitcnt vmcnt(0)
	global_atomic_cmpswap_x2 v[8:9], v2, v[3:6], s[10:11] offset:24 glc
	s_waitcnt vmcnt(0)
	buffer_wbinvl1_vol
	v_cmp_eq_u64_e32 vcc, v[8:9], v[5:6]
	s_or_b64 s[14:15], vcc, s[14:15]
	s_andn2_b64 exec, exec, s[14:15]
	s_cbranch_execnz .LBB3_386
; %bb.387:
	s_or_b64 exec, exec, s[14:15]
.LBB3_388:
	s_or_b64 exec, exec, s[12:13]
.LBB3_389:
	s_or_b64 exec, exec, s[2:3]
	v_mov_b32_e32 v3, 0
	global_load_dwordx2 v[10:11], v3, s[10:11] offset:40
	global_load_dwordx4 v[4:7], v3, s[10:11]
	v_readfirstlane_b32 s3, v9
	v_readfirstlane_b32 s2, v8
	s_mov_b64 s[12:13], exec
	s_waitcnt vmcnt(1)
	v_readfirstlane_b32 s14, v10
	v_readfirstlane_b32 s15, v11
	s_and_b64 s[14:15], s[14:15], s[2:3]
	s_mul_i32 s16, s15, 24
	s_mul_hi_u32 s17, s14, 24
	s_mul_i32 s18, s14, 24
	s_add_i32 s16, s17, s16
	v_mov_b32_e32 v2, s16
	s_waitcnt vmcnt(0)
	v_add_co_u32_e32 v8, vcc, s18, v4
	v_addc_co_u32_e32 v9, vcc, v5, v2, vcc
	s_and_saveexec_b64 s[16:17], s[0:1]
	s_cbranch_execz .LBB3_391
; %bb.390:
	v_mov_b32_e32 v10, s12
	v_mov_b32_e32 v11, s13
	;; [unrolled: 1-line block ×4, first 2 shown]
	global_store_dwordx4 v[8:9], v[10:13], off offset:8
.LBB3_391:
	s_or_b64 exec, exec, s[16:17]
	s_lshl_b64 s[12:13], s[14:15], 12
	v_mov_b32_e32 v2, s13
	v_add_co_u32_e32 v6, vcc, s12, v6
	v_addc_co_u32_e32 v7, vcc, v7, v2, vcc
	s_movk_i32 s12, 0xff1d
	v_and_or_b32 v0, v0, s12, 34
	s_mov_b32 s12, 0
	v_mov_b32_e32 v2, 4
	v_readfirstlane_b32 s16, v6
	v_readfirstlane_b32 s17, v7
	s_mov_b32 s13, s12
	s_mov_b32 s14, s12
	;; [unrolled: 1-line block ×3, first 2 shown]
	s_nop 1
	global_store_dwordx4 v32, v[0:3], s[16:17]
	s_nop 0
	v_mov_b32_e32 v0, s12
	v_mov_b32_e32 v1, s13
	;; [unrolled: 1-line block ×4, first 2 shown]
	global_store_dwordx4 v32, v[0:3], s[16:17] offset:16
	global_store_dwordx4 v32, v[0:3], s[16:17] offset:32
	;; [unrolled: 1-line block ×3, first 2 shown]
	s_and_saveexec_b64 s[12:13], s[0:1]
	s_cbranch_execz .LBB3_399
; %bb.392:
	v_mov_b32_e32 v6, 0
	global_load_dwordx2 v[12:13], v6, s[10:11] offset:32 glc
	global_load_dwordx2 v[0:1], v6, s[10:11] offset:40
	v_mov_b32_e32 v10, s2
	v_mov_b32_e32 v11, s3
	s_waitcnt vmcnt(0)
	v_readfirstlane_b32 s14, v0
	v_readfirstlane_b32 s15, v1
	s_and_b64 s[14:15], s[14:15], s[2:3]
	s_mul_i32 s15, s15, 24
	s_mul_hi_u32 s16, s14, 24
	s_mul_i32 s14, s14, 24
	s_add_i32 s15, s16, s15
	v_mov_b32_e32 v0, s15
	v_add_co_u32_e32 v4, vcc, s14, v4
	v_addc_co_u32_e32 v5, vcc, v5, v0, vcc
	global_store_dwordx2 v[4:5], v[12:13], off
	s_waitcnt vmcnt(0)
	global_atomic_cmpswap_x2 v[2:3], v6, v[10:13], s[10:11] offset:32 glc
	s_waitcnt vmcnt(0)
	v_cmp_ne_u64_e32 vcc, v[2:3], v[12:13]
	s_and_saveexec_b64 s[14:15], vcc
	s_cbranch_execz .LBB3_395
; %bb.393:
	s_mov_b64 s[16:17], 0
.LBB3_394:                              ; =>This Inner Loop Header: Depth=1
	s_sleep 1
	global_store_dwordx2 v[4:5], v[2:3], off
	v_mov_b32_e32 v0, s2
	v_mov_b32_e32 v1, s3
	s_waitcnt vmcnt(0)
	global_atomic_cmpswap_x2 v[0:1], v6, v[0:3], s[10:11] offset:32 glc
	s_waitcnt vmcnt(0)
	v_cmp_eq_u64_e32 vcc, v[0:1], v[2:3]
	v_mov_b32_e32 v3, v1
	s_or_b64 s[16:17], vcc, s[16:17]
	v_mov_b32_e32 v2, v0
	s_andn2_b64 exec, exec, s[16:17]
	s_cbranch_execnz .LBB3_394
.LBB3_395:
	s_or_b64 exec, exec, s[14:15]
	v_mov_b32_e32 v3, 0
	global_load_dwordx2 v[0:1], v3, s[10:11] offset:16
	s_mov_b64 s[14:15], exec
	v_mbcnt_lo_u32_b32 v2, s14, 0
	v_mbcnt_hi_u32_b32 v2, s15, v2
	v_cmp_eq_u32_e32 vcc, 0, v2
	s_and_saveexec_b64 s[16:17], vcc
	s_cbranch_execz .LBB3_397
; %bb.396:
	s_bcnt1_i32_b64 s14, s[14:15]
	v_mov_b32_e32 v2, s14
	s_waitcnt vmcnt(0)
	global_atomic_add_x2 v[0:1], v[2:3], off offset:8
.LBB3_397:
	s_or_b64 exec, exec, s[16:17]
	s_waitcnt vmcnt(0)
	global_load_dwordx2 v[2:3], v[0:1], off offset:16
	s_waitcnt vmcnt(0)
	v_cmp_eq_u64_e32 vcc, 0, v[2:3]
	s_cbranch_vccnz .LBB3_399
; %bb.398:
	global_load_dword v0, v[0:1], off offset:24
	v_mov_b32_e32 v1, 0
	s_waitcnt vmcnt(0)
	v_readfirstlane_b32 s14, v0
	s_and_b32 m0, s14, 0xffffff
	global_store_dwordx2 v[2:3], v[0:1], off
	s_sendmsg sendmsg(MSG_INTERRUPT)
.LBB3_399:
	s_or_b64 exec, exec, s[12:13]
	s_branch .LBB3_403
.LBB3_400:                              ;   in Loop: Header=BB3_403 Depth=1
	s_or_b64 exec, exec, s[12:13]
	v_readfirstlane_b32 s12, v0
	s_cmp_eq_u32 s12, 0
	s_cbranch_scc1 .LBB3_402
; %bb.401:                              ;   in Loop: Header=BB3_403 Depth=1
	s_sleep 1
	s_cbranch_execnz .LBB3_403
	s_branch .LBB3_405
.LBB3_402:
	s_branch .LBB3_405
.LBB3_403:                              ; =>This Inner Loop Header: Depth=1
	v_mov_b32_e32 v0, 1
	s_and_saveexec_b64 s[12:13], s[0:1]
	s_cbranch_execz .LBB3_400
; %bb.404:                              ;   in Loop: Header=BB3_403 Depth=1
	global_load_dword v0, v[8:9], off offset:20 glc
	s_waitcnt vmcnt(0)
	buffer_wbinvl1_vol
	v_and_b32_e32 v0, 1, v0
	s_branch .LBB3_400
.LBB3_405:
	s_and_b64 exec, exec, s[0:1]
	s_cbranch_execz .LBB3_408
; %bb.406:
	v_mov_b32_e32 v6, 0
	global_load_dwordx2 v[0:1], v6, s[10:11] offset:40
	global_load_dwordx2 v[9:10], v6, s[10:11] offset:24 glc
	global_load_dwordx2 v[2:3], v6, s[10:11]
	s_waitcnt vmcnt(2)
	v_readfirstlane_b32 s12, v0
	v_readfirstlane_b32 s13, v1
	s_add_u32 s14, s12, 1
	s_addc_u32 s15, s13, 0
	s_add_u32 s0, s14, s2
	s_addc_u32 s1, s15, s3
	s_cmp_eq_u64 s[0:1], 0
	s_cselect_b32 s1, s15, s1
	s_cselect_b32 s0, s14, s0
	s_and_b64 s[2:3], s[0:1], s[12:13]
	s_mul_i32 s3, s3, 24
	s_mul_hi_u32 s12, s2, 24
	s_mul_i32 s2, s2, 24
	s_add_i32 s3, s12, s3
	v_mov_b32_e32 v0, s3
	s_waitcnt vmcnt(0)
	v_add_co_u32_e32 v4, vcc, s2, v2
	v_addc_co_u32_e32 v5, vcc, v3, v0, vcc
	v_mov_b32_e32 v7, s0
	global_store_dwordx2 v[4:5], v[9:10], off
	v_mov_b32_e32 v8, s1
	s_waitcnt vmcnt(0)
	global_atomic_cmpswap_x2 v[2:3], v6, v[7:10], s[10:11] offset:24 glc
	s_mov_b64 s[2:3], 0
	s_waitcnt vmcnt(0)
	v_cmp_ne_u64_e32 vcc, v[2:3], v[9:10]
	s_and_b64 exec, exec, vcc
	s_cbranch_execz .LBB3_408
.LBB3_407:                              ; =>This Inner Loop Header: Depth=1
	s_sleep 1
	global_store_dwordx2 v[4:5], v[2:3], off
	v_mov_b32_e32 v0, s0
	v_mov_b32_e32 v1, s1
	s_waitcnt vmcnt(0)
	global_atomic_cmpswap_x2 v[0:1], v6, v[0:3], s[10:11] offset:24 glc
	s_waitcnt vmcnt(0)
	v_cmp_eq_u64_e32 vcc, v[0:1], v[2:3]
	v_mov_b32_e32 v3, v1
	s_or_b64 s[2:3], vcc, s[2:3]
	v_mov_b32_e32 v2, v0
	s_andn2_b64 exec, exec, s[2:3]
	s_cbranch_execnz .LBB3_407
.LBB3_408:
	s_or_b64 exec, exec, s[8:9]
	v_and_b32_e32 v0, -4, v26
	v_ashrrev_i32_e32 v1, 31, v0
	v_lshlrev_b64 v[0:1], 2, v[0:1]
	v_mov_b32_e32 v2, s27
	v_add_co_u32_e32 v0, vcc, s28, v0
	v_and_b32_e32 v4, 3, v26
	v_addc_co_u32_e32 v1, vcc, v2, v1, vcc
	v_lshlrev_b32_e32 v2, 2, v4
	v_add_co_u32_e32 v2, vcc, v0, v2
	v_addc_co_u32_e32 v3, vcc, 0, v1, vcc
	v_cmp_gt_u32_e32 vcc, 2, v4
	s_waitcnt vmcnt(0) lgkmcnt(0)
	s_barrier
	flat_store_dword v[2:3], v26
	s_waitcnt vmcnt(0) lgkmcnt(0)
	buffer_wbinvl1_vol
	s_and_saveexec_b64 s[0:1], vcc
	s_cbranch_execz .LBB3_410
; %bb.409:
	flat_load_dword v5, v[2:3] offset:8
	s_waitcnt vmcnt(0) lgkmcnt(0)
	v_add_u32_e32 v31, v5, v26
.LBB3_410:
	s_or_b64 exec, exec, s[0:1]
	v_cmp_eq_u32_e64 s[0:1], 0, v4
	buffer_wbinvl1_vol
	flat_store_dword v[2:3], v31
	s_waitcnt vmcnt(0) lgkmcnt(0)
	buffer_wbinvl1_vol
	s_and_saveexec_b64 s[2:3], s[0:1]
	s_cbranch_execnz .LBB3_413
; %bb.411:
	s_or_b64 exec, exec, s[2:3]
	buffer_wbinvl1_vol
	s_and_saveexec_b64 s[2:3], s[0:1]
	s_cbranch_execnz .LBB3_414
.LBB3_412:
	s_endpgm
.LBB3_413:
	flat_load_dword v0, v[0:1] offset:4
	s_waitcnt vmcnt(0) lgkmcnt(0)
	v_add_u32_e32 v31, v0, v31
	s_or_b64 exec, exec, s[2:3]
	buffer_wbinvl1_vol
	s_and_saveexec_b64 s[2:3], s[0:1]
	s_cbranch_execz .LBB3_412
.LBB3_414:
	s_load_dwordx2 s[6:7], s[6:7], 0x50
	v_mbcnt_lo_u32_b32 v0, -1, 0
	v_mbcnt_hi_u32_b32 v33, -1, v0
	v_readfirstlane_b32 s2, v33
	v_mov_b32_e32 v5, 0
	v_mov_b32_e32 v6, 0
	v_cmp_eq_u32_e64 s[2:3], s2, v33
	s_and_saveexec_b64 s[8:9], s[2:3]
	s_cbranch_execz .LBB3_420
; %bb.415:
	v_mov_b32_e32 v0, 0
	s_waitcnt lgkmcnt(0)
	global_load_dwordx2 v[3:4], v0, s[6:7] offset:24 glc
	s_waitcnt vmcnt(0)
	buffer_wbinvl1_vol
	global_load_dwordx2 v[1:2], v0, s[6:7] offset:40
	global_load_dwordx2 v[5:6], v0, s[6:7]
	s_waitcnt vmcnt(1)
	v_and_b32_e32 v1, v1, v3
	v_and_b32_e32 v2, v2, v4
	v_mul_lo_u32 v2, v2, 24
	v_mul_hi_u32 v7, v1, 24
	v_mul_lo_u32 v1, v1, 24
	v_add_u32_e32 v2, v7, v2
	s_waitcnt vmcnt(0)
	v_add_co_u32_e32 v1, vcc, v5, v1
	v_addc_co_u32_e32 v2, vcc, v6, v2, vcc
	global_load_dwordx2 v[1:2], v[1:2], off glc
	s_waitcnt vmcnt(0)
	global_atomic_cmpswap_x2 v[5:6], v0, v[1:4], s[6:7] offset:24 glc
	s_waitcnt vmcnt(0)
	buffer_wbinvl1_vol
	v_cmp_ne_u64_e32 vcc, v[5:6], v[3:4]
	s_and_saveexec_b64 s[10:11], vcc
	s_cbranch_execz .LBB3_419
; %bb.416:
	s_mov_b64 s[12:13], 0
.LBB3_417:                              ; =>This Inner Loop Header: Depth=1
	s_sleep 1
	global_load_dwordx2 v[1:2], v0, s[6:7] offset:40
	global_load_dwordx2 v[7:8], v0, s[6:7]
	v_mov_b32_e32 v3, v5
	v_mov_b32_e32 v4, v6
	s_waitcnt vmcnt(1)
	v_and_b32_e32 v1, v1, v3
	s_waitcnt vmcnt(0)
	v_mad_u64_u32 v[5:6], s[14:15], v1, 24, v[7:8]
	v_and_b32_e32 v2, v2, v4
	v_mov_b32_e32 v1, v6
	v_mad_u64_u32 v[1:2], s[14:15], v2, 24, v[1:2]
	v_mov_b32_e32 v6, v1
	global_load_dwordx2 v[1:2], v[5:6], off glc
	s_waitcnt vmcnt(0)
	global_atomic_cmpswap_x2 v[5:6], v0, v[1:4], s[6:7] offset:24 glc
	s_waitcnt vmcnt(0)
	buffer_wbinvl1_vol
	v_cmp_eq_u64_e32 vcc, v[5:6], v[3:4]
	s_or_b64 s[12:13], vcc, s[12:13]
	s_andn2_b64 exec, exec, s[12:13]
	s_cbranch_execnz .LBB3_417
; %bb.418:
	s_or_b64 exec, exec, s[12:13]
.LBB3_419:
	s_or_b64 exec, exec, s[10:11]
.LBB3_420:
	s_or_b64 exec, exec, s[8:9]
	v_mov_b32_e32 v4, 0
	s_waitcnt lgkmcnt(0)
	global_load_dwordx2 v[7:8], v4, s[6:7] offset:40
	global_load_dwordx4 v[0:3], v4, s[6:7]
	v_readfirstlane_b32 s9, v6
	v_readfirstlane_b32 s8, v5
	s_mov_b64 s[10:11], exec
	s_waitcnt vmcnt(1)
	v_readfirstlane_b32 s12, v7
	v_readfirstlane_b32 s13, v8
	s_and_b64 s[12:13], s[12:13], s[8:9]
	s_mul_i32 s14, s13, 24
	s_mul_hi_u32 s15, s12, 24
	s_mul_i32 s16, s12, 24
	s_add_i32 s14, s15, s14
	v_mov_b32_e32 v5, s14
	s_waitcnt vmcnt(0)
	v_add_co_u32_e32 v7, vcc, s16, v0
	v_addc_co_u32_e32 v8, vcc, v1, v5, vcc
	s_and_saveexec_b64 s[14:15], s[2:3]
	s_cbranch_execz .LBB3_422
; %bb.421:
	v_mov_b32_e32 v9, s10
	v_mov_b32_e32 v10, s11
	;; [unrolled: 1-line block ×4, first 2 shown]
	global_store_dwordx4 v[7:8], v[9:12], off offset:8
.LBB3_422:
	s_or_b64 exec, exec, s[14:15]
	s_lshl_b64 s[10:11], s[12:13], 12
	v_mov_b32_e32 v5, s11
	v_add_co_u32_e32 v2, vcc, s10, v2
	v_addc_co_u32_e32 v11, vcc, v3, v5, vcc
	v_lshlrev_b32_e32 v32, 6, v33
	s_mov_b32 s12, 0
	v_mov_b32_e32 v3, 33
	v_mov_b32_e32 v5, v4
	;; [unrolled: 1-line block ×3, first 2 shown]
	v_readfirstlane_b32 s10, v2
	v_readfirstlane_b32 s11, v11
	v_add_co_u32_e32 v9, vcc, v2, v32
	s_mov_b32 s13, s12
	s_mov_b32 s14, s12
	;; [unrolled: 1-line block ×3, first 2 shown]
	s_nop 0
	global_store_dwordx4 v32, v[3:6], s[10:11]
	v_mov_b32_e32 v2, s12
	v_addc_co_u32_e32 v10, vcc, 0, v11, vcc
	v_mov_b32_e32 v3, s13
	v_mov_b32_e32 v4, s14
	v_mov_b32_e32 v5, s15
	global_store_dwordx4 v32, v[2:5], s[10:11] offset:16
	global_store_dwordx4 v32, v[2:5], s[10:11] offset:32
	;; [unrolled: 1-line block ×3, first 2 shown]
	s_and_saveexec_b64 s[10:11], s[2:3]
	s_cbranch_execz .LBB3_430
; %bb.423:
	v_mov_b32_e32 v6, 0
	global_load_dwordx2 v[13:14], v6, s[6:7] offset:32 glc
	global_load_dwordx2 v[2:3], v6, s[6:7] offset:40
	v_mov_b32_e32 v11, s8
	v_mov_b32_e32 v12, s9
	s_waitcnt vmcnt(0)
	v_and_b32_e32 v2, s8, v2
	v_and_b32_e32 v3, s9, v3
	v_mul_lo_u32 v3, v3, 24
	v_mul_hi_u32 v4, v2, 24
	v_mul_lo_u32 v2, v2, 24
	v_add_u32_e32 v3, v4, v3
	v_add_co_u32_e32 v4, vcc, v0, v2
	v_addc_co_u32_e32 v5, vcc, v1, v3, vcc
	global_store_dwordx2 v[4:5], v[13:14], off
	s_waitcnt vmcnt(0)
	global_atomic_cmpswap_x2 v[2:3], v6, v[11:14], s[6:7] offset:32 glc
	s_waitcnt vmcnt(0)
	v_cmp_ne_u64_e32 vcc, v[2:3], v[13:14]
	s_and_saveexec_b64 s[12:13], vcc
	s_cbranch_execz .LBB3_426
; %bb.424:
	s_mov_b64 s[14:15], 0
.LBB3_425:                              ; =>This Inner Loop Header: Depth=1
	s_sleep 1
	global_store_dwordx2 v[4:5], v[2:3], off
	v_mov_b32_e32 v0, s8
	v_mov_b32_e32 v1, s9
	s_waitcnt vmcnt(0)
	global_atomic_cmpswap_x2 v[0:1], v6, v[0:3], s[6:7] offset:32 glc
	s_waitcnt vmcnt(0)
	v_cmp_eq_u64_e32 vcc, v[0:1], v[2:3]
	v_mov_b32_e32 v3, v1
	s_or_b64 s[14:15], vcc, s[14:15]
	v_mov_b32_e32 v2, v0
	s_andn2_b64 exec, exec, s[14:15]
	s_cbranch_execnz .LBB3_425
.LBB3_426:
	s_or_b64 exec, exec, s[12:13]
	v_mov_b32_e32 v3, 0
	global_load_dwordx2 v[0:1], v3, s[6:7] offset:16
	s_mov_b64 s[12:13], exec
	v_mbcnt_lo_u32_b32 v2, s12, 0
	v_mbcnt_hi_u32_b32 v2, s13, v2
	v_cmp_eq_u32_e32 vcc, 0, v2
	s_and_saveexec_b64 s[14:15], vcc
	s_cbranch_execz .LBB3_428
; %bb.427:
	s_bcnt1_i32_b64 s12, s[12:13]
	v_mov_b32_e32 v2, s12
	s_waitcnt vmcnt(0)
	global_atomic_add_x2 v[0:1], v[2:3], off offset:8
.LBB3_428:
	s_or_b64 exec, exec, s[14:15]
	s_waitcnt vmcnt(0)
	global_load_dwordx2 v[2:3], v[0:1], off offset:16
	s_waitcnt vmcnt(0)
	v_cmp_eq_u64_e32 vcc, 0, v[2:3]
	s_cbranch_vccnz .LBB3_430
; %bb.429:
	global_load_dword v0, v[0:1], off offset:24
	v_mov_b32_e32 v1, 0
	s_waitcnt vmcnt(0)
	v_readfirstlane_b32 s12, v0
	s_and_b32 m0, s12, 0xffffff
	global_store_dwordx2 v[2:3], v[0:1], off
	s_sendmsg sendmsg(MSG_INTERRUPT)
.LBB3_430:
	s_or_b64 exec, exec, s[10:11]
	s_branch .LBB3_434
.LBB3_431:                              ;   in Loop: Header=BB3_434 Depth=1
	s_or_b64 exec, exec, s[10:11]
	v_readfirstlane_b32 s10, v0
	s_cmp_eq_u32 s10, 0
	s_cbranch_scc1 .LBB3_433
; %bb.432:                              ;   in Loop: Header=BB3_434 Depth=1
	s_sleep 1
	s_cbranch_execnz .LBB3_434
	s_branch .LBB3_436
.LBB3_433:
	s_branch .LBB3_436
.LBB3_434:                              ; =>This Inner Loop Header: Depth=1
	v_mov_b32_e32 v0, 1
	s_and_saveexec_b64 s[10:11], s[2:3]
	s_cbranch_execz .LBB3_431
; %bb.435:                              ;   in Loop: Header=BB3_434 Depth=1
	global_load_dword v0, v[7:8], off offset:20 glc
	s_waitcnt vmcnt(0)
	buffer_wbinvl1_vol
	v_and_b32_e32 v0, 1, v0
	s_branch .LBB3_431
.LBB3_436:
	global_load_dwordx2 v[0:1], v[9:10], off
	s_and_saveexec_b64 s[10:11], s[2:3]
	s_cbranch_execz .LBB3_439
; %bb.437:
	v_mov_b32_e32 v8, 0
	global_load_dwordx2 v[2:3], v8, s[6:7] offset:40
	global_load_dwordx2 v[11:12], v8, s[6:7] offset:24 glc
	global_load_dwordx2 v[4:5], v8, s[6:7]
	s_waitcnt vmcnt(2)
	v_readfirstlane_b32 s12, v2
	v_readfirstlane_b32 s13, v3
	s_add_u32 s14, s12, 1
	s_addc_u32 s15, s13, 0
	s_add_u32 s2, s14, s8
	s_addc_u32 s3, s15, s9
	s_cmp_eq_u64 s[2:3], 0
	s_cselect_b32 s3, s15, s3
	s_cselect_b32 s2, s14, s2
	s_and_b64 s[8:9], s[2:3], s[12:13]
	s_mul_i32 s9, s9, 24
	s_mul_hi_u32 s12, s8, 24
	s_mul_i32 s8, s8, 24
	s_add_i32 s9, s12, s9
	v_mov_b32_e32 v2, s9
	s_waitcnt vmcnt(0)
	v_add_co_u32_e32 v6, vcc, s8, v4
	v_addc_co_u32_e32 v7, vcc, v5, v2, vcc
	v_mov_b32_e32 v9, s2
	global_store_dwordx2 v[6:7], v[11:12], off
	v_mov_b32_e32 v10, s3
	s_waitcnt vmcnt(0)
	global_atomic_cmpswap_x2 v[4:5], v8, v[9:12], s[6:7] offset:24 glc
	s_mov_b64 s[8:9], 0
	s_waitcnt vmcnt(0)
	v_cmp_ne_u64_e32 vcc, v[4:5], v[11:12]
	s_and_b64 exec, exec, vcc
	s_cbranch_execz .LBB3_439
.LBB3_438:                              ; =>This Inner Loop Header: Depth=1
	s_sleep 1
	global_store_dwordx2 v[6:7], v[4:5], off
	v_mov_b32_e32 v2, s2
	v_mov_b32_e32 v3, s3
	s_waitcnt vmcnt(0)
	global_atomic_cmpswap_x2 v[2:3], v8, v[2:5], s[6:7] offset:24 glc
	s_waitcnt vmcnt(0)
	v_cmp_eq_u64_e32 vcc, v[2:3], v[4:5]
	v_mov_b32_e32 v5, v3
	s_or_b64 s[8:9], vcc, s[8:9]
	v_mov_b32_e32 v4, v2
	s_andn2_b64 exec, exec, s[8:9]
	s_cbranch_execnz .LBB3_438
.LBB3_439:
	s_or_b64 exec, exec, s[10:11]
	s_getpc_b64 s[8:9]
	s_add_u32 s8, s8, .str.9@rel32@lo+4
	s_addc_u32 s9, s9, .str.9@rel32@hi+12
	s_cmp_lg_u64 s[8:9], 0
	s_cselect_b64 s[2:3], -1, 0
	s_cmp_eq_u64 s[8:9], 0
	s_mov_b64 s[8:9], 0
	s_cbranch_scc1 .LBB3_443
; %bb.440:
	v_mov_b32_e32 v2, 0
	s_getpc_b64 s[8:9]
	s_add_u32 s8, s8, .str.9@rel32@lo+3
	s_addc_u32 s9, s9, .str.9@rel32@hi+11
.LBB3_441:                              ; =>This Inner Loop Header: Depth=1
	global_load_ubyte v3, v2, s[8:9] offset:1
	s_add_u32 s10, s8, 1
	s_addc_u32 s11, s9, 0
	s_mov_b64 s[8:9], s[10:11]
	s_waitcnt vmcnt(0)
	v_cmp_ne_u32_e32 vcc, 0, v3
	s_cbranch_vccnz .LBB3_441
; %bb.442:
	s_getpc_b64 s[8:9]
	s_add_u32 s8, s8, .str.9@rel32@lo+4
	s_addc_u32 s9, s9, .str.9@rel32@hi+12
	s_sub_u32 s8, s10, s8
	s_subb_u32 s9, s11, s9
	s_add_u32 s8, s8, 1
	s_addc_u32 s9, s9, 0
.LBB3_443:
	s_and_b64 vcc, exec, s[2:3]
	s_cbranch_vccz .LBB3_529
; %bb.444:
	s_waitcnt vmcnt(0)
	v_and_b32_e32 v34, 2, v0
	v_mov_b32_e32 v28, 0
	v_and_b32_e32 v2, -3, v0
	v_mov_b32_e32 v3, v1
	v_mov_b32_e32 v8, 2
	;; [unrolled: 1-line block ×3, first 2 shown]
	s_getpc_b64 s[10:11]
	s_add_u32 s10, s10, .str.9@rel32@lo+4
	s_addc_u32 s11, s11, .str.9@rel32@hi+12
	s_branch .LBB3_446
.LBB3_445:                              ;   in Loop: Header=BB3_446 Depth=1
	s_or_b64 exec, exec, s[16:17]
	s_sub_u32 s8, s8, s12
	s_subb_u32 s9, s9, s13
	s_add_u32 s10, s10, s12
	s_addc_u32 s11, s11, s13
	s_cmp_lg_u64 s[8:9], 0
	s_cbranch_scc0 .LBB3_528
.LBB3_446:                              ; =>This Loop Header: Depth=1
                                        ;     Child Loop BB3_449 Depth 2
                                        ;     Child Loop BB3_457 Depth 2
	;; [unrolled: 1-line block ×11, first 2 shown]
	v_cmp_lt_u64_e64 s[2:3], s[8:9], 56
	v_cmp_gt_u64_e64 s[14:15], s[8:9], 7
	s_and_b64 s[2:3], s[2:3], exec
	s_cselect_b32 s13, s9, 0
	s_cselect_b32 s12, s8, 56
	s_add_u32 s2, s10, 8
	s_addc_u32 s3, s11, 0
	s_and_b64 vcc, exec, s[14:15]
	s_cbranch_vccnz .LBB3_450
; %bb.447:                              ;   in Loop: Header=BB3_446 Depth=1
	s_cmp_eq_u64 s[8:9], 0
	s_cbranch_scc1 .LBB3_451
; %bb.448:                              ;   in Loop: Header=BB3_446 Depth=1
	v_mov_b32_e32 v4, 0
	s_lshl_b64 s[2:3], s[12:13], 3
	s_mov_b64 s[14:15], 0
	v_mov_b32_e32 v5, 0
	s_mov_b64 s[16:17], s[10:11]
.LBB3_449:                              ;   Parent Loop BB3_446 Depth=1
                                        ; =>  This Inner Loop Header: Depth=2
	global_load_ubyte v6, v28, s[16:17]
	s_waitcnt vmcnt(0)
	v_and_b32_e32 v27, 0xffff, v6
	v_lshlrev_b64 v[6:7], s14, v[27:28]
	s_add_u32 s14, s14, 8
	s_addc_u32 s15, s15, 0
	s_add_u32 s16, s16, 1
	s_addc_u32 s17, s17, 0
	v_or_b32_e32 v4, v6, v4
	s_cmp_lg_u32 s2, s14
	v_or_b32_e32 v5, v7, v5
	s_cbranch_scc1 .LBB3_449
	s_branch .LBB3_452
.LBB3_450:                              ;   in Loop: Header=BB3_446 Depth=1
	s_mov_b32 s18, 0
	s_branch .LBB3_453
.LBB3_451:                              ;   in Loop: Header=BB3_446 Depth=1
	v_mov_b32_e32 v4, 0
	v_mov_b32_e32 v5, 0
.LBB3_452:                              ;   in Loop: Header=BB3_446 Depth=1
	s_mov_b64 s[2:3], s[10:11]
	s_mov_b32 s18, 0
	s_cbranch_execnz .LBB3_454
.LBB3_453:                              ;   in Loop: Header=BB3_446 Depth=1
	global_load_dwordx2 v[4:5], v28, s[10:11]
	s_add_i32 s18, s12, -8
.LBB3_454:                              ;   in Loop: Header=BB3_446 Depth=1
	s_add_u32 s14, s2, 8
	s_addc_u32 s15, s3, 0
	s_cmp_gt_u32 s18, 7
	s_cbranch_scc1 .LBB3_458
; %bb.455:                              ;   in Loop: Header=BB3_446 Depth=1
	s_cmp_eq_u32 s18, 0
	s_cbranch_scc1 .LBB3_459
; %bb.456:                              ;   in Loop: Header=BB3_446 Depth=1
	v_mov_b32_e32 v10, 0
	s_mov_b64 s[14:15], 0
	v_mov_b32_e32 v11, 0
	s_mov_b64 s[16:17], 0
.LBB3_457:                              ;   Parent Loop BB3_446 Depth=1
                                        ; =>  This Inner Loop Header: Depth=2
	s_add_u32 s20, s2, s16
	s_addc_u32 s21, s3, s17
	global_load_ubyte v6, v28, s[20:21]
	s_add_u32 s16, s16, 1
	s_addc_u32 s17, s17, 0
	s_waitcnt vmcnt(0)
	v_and_b32_e32 v27, 0xffff, v6
	v_lshlrev_b64 v[6:7], s14, v[27:28]
	s_add_u32 s14, s14, 8
	s_addc_u32 s15, s15, 0
	v_or_b32_e32 v10, v6, v10
	s_cmp_lg_u32 s18, s16
	v_or_b32_e32 v11, v7, v11
	s_cbranch_scc1 .LBB3_457
	s_branch .LBB3_460
.LBB3_458:                              ;   in Loop: Header=BB3_446 Depth=1
                                        ; implicit-def: $vgpr10_vgpr11
	s_mov_b32 s19, 0
	s_branch .LBB3_461
.LBB3_459:                              ;   in Loop: Header=BB3_446 Depth=1
	v_mov_b32_e32 v10, 0
	v_mov_b32_e32 v11, 0
.LBB3_460:                              ;   in Loop: Header=BB3_446 Depth=1
	s_mov_b64 s[14:15], s[2:3]
	s_mov_b32 s19, 0
	s_cbranch_execnz .LBB3_462
.LBB3_461:                              ;   in Loop: Header=BB3_446 Depth=1
	global_load_dwordx2 v[10:11], v28, s[2:3]
	s_add_i32 s19, s18, -8
.LBB3_462:                              ;   in Loop: Header=BB3_446 Depth=1
	s_add_u32 s2, s14, 8
	s_addc_u32 s3, s15, 0
	s_cmp_gt_u32 s19, 7
	s_cbranch_scc1 .LBB3_466
; %bb.463:                              ;   in Loop: Header=BB3_446 Depth=1
	s_cmp_eq_u32 s19, 0
	s_cbranch_scc1 .LBB3_467
; %bb.464:                              ;   in Loop: Header=BB3_446 Depth=1
	v_mov_b32_e32 v12, 0
	s_mov_b64 s[2:3], 0
	v_mov_b32_e32 v13, 0
	s_mov_b64 s[16:17], 0
.LBB3_465:                              ;   Parent Loop BB3_446 Depth=1
                                        ; =>  This Inner Loop Header: Depth=2
	s_add_u32 s20, s14, s16
	s_addc_u32 s21, s15, s17
	global_load_ubyte v6, v28, s[20:21]
	s_add_u32 s16, s16, 1
	s_addc_u32 s17, s17, 0
	s_waitcnt vmcnt(0)
	v_and_b32_e32 v27, 0xffff, v6
	v_lshlrev_b64 v[6:7], s2, v[27:28]
	s_add_u32 s2, s2, 8
	s_addc_u32 s3, s3, 0
	v_or_b32_e32 v12, v6, v12
	s_cmp_lg_u32 s19, s16
	v_or_b32_e32 v13, v7, v13
	s_cbranch_scc1 .LBB3_465
	s_branch .LBB3_468
.LBB3_466:                              ;   in Loop: Header=BB3_446 Depth=1
	s_mov_b32 s18, 0
	s_branch .LBB3_469
.LBB3_467:                              ;   in Loop: Header=BB3_446 Depth=1
	v_mov_b32_e32 v12, 0
	v_mov_b32_e32 v13, 0
.LBB3_468:                              ;   in Loop: Header=BB3_446 Depth=1
	s_mov_b64 s[2:3], s[14:15]
	s_mov_b32 s18, 0
	s_cbranch_execnz .LBB3_470
.LBB3_469:                              ;   in Loop: Header=BB3_446 Depth=1
	global_load_dwordx2 v[12:13], v28, s[14:15]
	s_add_i32 s18, s19, -8
.LBB3_470:                              ;   in Loop: Header=BB3_446 Depth=1
	s_add_u32 s14, s2, 8
	s_addc_u32 s15, s3, 0
	s_cmp_gt_u32 s18, 7
	s_cbranch_scc1 .LBB3_474
; %bb.471:                              ;   in Loop: Header=BB3_446 Depth=1
	s_cmp_eq_u32 s18, 0
	s_cbranch_scc1 .LBB3_475
; %bb.472:                              ;   in Loop: Header=BB3_446 Depth=1
	v_mov_b32_e32 v14, 0
	s_mov_b64 s[14:15], 0
	v_mov_b32_e32 v15, 0
	s_mov_b64 s[16:17], 0
.LBB3_473:                              ;   Parent Loop BB3_446 Depth=1
                                        ; =>  This Inner Loop Header: Depth=2
	s_add_u32 s20, s2, s16
	s_addc_u32 s21, s3, s17
	global_load_ubyte v6, v28, s[20:21]
	s_add_u32 s16, s16, 1
	s_addc_u32 s17, s17, 0
	s_waitcnt vmcnt(0)
	v_and_b32_e32 v27, 0xffff, v6
	v_lshlrev_b64 v[6:7], s14, v[27:28]
	s_add_u32 s14, s14, 8
	s_addc_u32 s15, s15, 0
	v_or_b32_e32 v14, v6, v14
	s_cmp_lg_u32 s18, s16
	v_or_b32_e32 v15, v7, v15
	s_cbranch_scc1 .LBB3_473
	s_branch .LBB3_476
.LBB3_474:                              ;   in Loop: Header=BB3_446 Depth=1
                                        ; implicit-def: $vgpr14_vgpr15
	s_mov_b32 s19, 0
	s_branch .LBB3_477
.LBB3_475:                              ;   in Loop: Header=BB3_446 Depth=1
	v_mov_b32_e32 v14, 0
	v_mov_b32_e32 v15, 0
.LBB3_476:                              ;   in Loop: Header=BB3_446 Depth=1
	s_mov_b64 s[14:15], s[2:3]
	s_mov_b32 s19, 0
	s_cbranch_execnz .LBB3_478
.LBB3_477:                              ;   in Loop: Header=BB3_446 Depth=1
	global_load_dwordx2 v[14:15], v28, s[2:3]
	s_add_i32 s19, s18, -8
.LBB3_478:                              ;   in Loop: Header=BB3_446 Depth=1
	s_add_u32 s2, s14, 8
	s_addc_u32 s3, s15, 0
	s_cmp_gt_u32 s19, 7
	s_cbranch_scc1 .LBB3_482
; %bb.479:                              ;   in Loop: Header=BB3_446 Depth=1
	s_cmp_eq_u32 s19, 0
	s_cbranch_scc1 .LBB3_483
; %bb.480:                              ;   in Loop: Header=BB3_446 Depth=1
	v_mov_b32_e32 v16, 0
	s_mov_b64 s[2:3], 0
	v_mov_b32_e32 v17, 0
	s_mov_b64 s[16:17], 0
.LBB3_481:                              ;   Parent Loop BB3_446 Depth=1
                                        ; =>  This Inner Loop Header: Depth=2
	s_add_u32 s20, s14, s16
	s_addc_u32 s21, s15, s17
	global_load_ubyte v6, v28, s[20:21]
	s_add_u32 s16, s16, 1
	s_addc_u32 s17, s17, 0
	s_waitcnt vmcnt(0)
	v_and_b32_e32 v27, 0xffff, v6
	v_lshlrev_b64 v[6:7], s2, v[27:28]
	s_add_u32 s2, s2, 8
	s_addc_u32 s3, s3, 0
	v_or_b32_e32 v16, v6, v16
	s_cmp_lg_u32 s19, s16
	v_or_b32_e32 v17, v7, v17
	s_cbranch_scc1 .LBB3_481
	s_branch .LBB3_484
.LBB3_482:                              ;   in Loop: Header=BB3_446 Depth=1
	s_mov_b32 s18, 0
	s_branch .LBB3_485
.LBB3_483:                              ;   in Loop: Header=BB3_446 Depth=1
	v_mov_b32_e32 v16, 0
	v_mov_b32_e32 v17, 0
.LBB3_484:                              ;   in Loop: Header=BB3_446 Depth=1
	s_mov_b64 s[2:3], s[14:15]
	s_mov_b32 s18, 0
	s_cbranch_execnz .LBB3_486
.LBB3_485:                              ;   in Loop: Header=BB3_446 Depth=1
	global_load_dwordx2 v[16:17], v28, s[14:15]
	s_add_i32 s18, s19, -8
.LBB3_486:                              ;   in Loop: Header=BB3_446 Depth=1
	s_add_u32 s14, s2, 8
	s_addc_u32 s15, s3, 0
	s_cmp_gt_u32 s18, 7
	s_cbranch_scc1 .LBB3_490
; %bb.487:                              ;   in Loop: Header=BB3_446 Depth=1
	s_cmp_eq_u32 s18, 0
	s_cbranch_scc1 .LBB3_491
; %bb.488:                              ;   in Loop: Header=BB3_446 Depth=1
	v_mov_b32_e32 v18, 0
	s_mov_b64 s[14:15], 0
	v_mov_b32_e32 v19, 0
	s_mov_b64 s[16:17], 0
.LBB3_489:                              ;   Parent Loop BB3_446 Depth=1
                                        ; =>  This Inner Loop Header: Depth=2
	s_add_u32 s20, s2, s16
	s_addc_u32 s21, s3, s17
	global_load_ubyte v6, v28, s[20:21]
	s_add_u32 s16, s16, 1
	s_addc_u32 s17, s17, 0
	s_waitcnt vmcnt(0)
	v_and_b32_e32 v27, 0xffff, v6
	v_lshlrev_b64 v[6:7], s14, v[27:28]
	s_add_u32 s14, s14, 8
	s_addc_u32 s15, s15, 0
	v_or_b32_e32 v18, v6, v18
	s_cmp_lg_u32 s18, s16
	v_or_b32_e32 v19, v7, v19
	s_cbranch_scc1 .LBB3_489
	s_branch .LBB3_492
.LBB3_490:                              ;   in Loop: Header=BB3_446 Depth=1
                                        ; implicit-def: $vgpr18_vgpr19
	s_mov_b32 s19, 0
	s_branch .LBB3_493
.LBB3_491:                              ;   in Loop: Header=BB3_446 Depth=1
	v_mov_b32_e32 v18, 0
	v_mov_b32_e32 v19, 0
.LBB3_492:                              ;   in Loop: Header=BB3_446 Depth=1
	s_mov_b64 s[14:15], s[2:3]
	s_mov_b32 s19, 0
	s_cbranch_execnz .LBB3_494
.LBB3_493:                              ;   in Loop: Header=BB3_446 Depth=1
	global_load_dwordx2 v[18:19], v28, s[2:3]
	s_add_i32 s19, s18, -8
.LBB3_494:                              ;   in Loop: Header=BB3_446 Depth=1
	s_cmp_gt_u32 s19, 7
	s_cbranch_scc1 .LBB3_498
; %bb.495:                              ;   in Loop: Header=BB3_446 Depth=1
	s_cmp_eq_u32 s19, 0
	s_cbranch_scc1 .LBB3_499
; %bb.496:                              ;   in Loop: Header=BB3_446 Depth=1
	v_mov_b32_e32 v20, 0
	s_mov_b64 s[2:3], 0
	v_mov_b32_e32 v21, 0
	s_mov_b64 s[16:17], s[14:15]
.LBB3_497:                              ;   Parent Loop BB3_446 Depth=1
                                        ; =>  This Inner Loop Header: Depth=2
	global_load_ubyte v6, v28, s[16:17]
	s_add_i32 s19, s19, -1
	s_waitcnt vmcnt(0)
	v_and_b32_e32 v27, 0xffff, v6
	v_lshlrev_b64 v[6:7], s2, v[27:28]
	s_add_u32 s2, s2, 8
	s_addc_u32 s3, s3, 0
	s_add_u32 s16, s16, 1
	s_addc_u32 s17, s17, 0
	v_or_b32_e32 v20, v6, v20
	s_cmp_lg_u32 s19, 0
	v_or_b32_e32 v21, v7, v21
	s_cbranch_scc1 .LBB3_497
	s_branch .LBB3_500
.LBB3_498:                              ;   in Loop: Header=BB3_446 Depth=1
	s_branch .LBB3_501
.LBB3_499:                              ;   in Loop: Header=BB3_446 Depth=1
	v_mov_b32_e32 v20, 0
	v_mov_b32_e32 v21, 0
.LBB3_500:                              ;   in Loop: Header=BB3_446 Depth=1
	s_cbranch_execnz .LBB3_502
.LBB3_501:                              ;   in Loop: Header=BB3_446 Depth=1
	global_load_dwordx2 v[20:21], v28, s[14:15]
.LBB3_502:                              ;   in Loop: Header=BB3_446 Depth=1
	v_readfirstlane_b32 s2, v33
	v_mov_b32_e32 v6, 0
	v_mov_b32_e32 v7, 0
	v_cmp_eq_u32_e64 s[2:3], s2, v33
	s_and_saveexec_b64 s[14:15], s[2:3]
	s_cbranch_execz .LBB3_508
; %bb.503:                              ;   in Loop: Header=BB3_446 Depth=1
	global_load_dwordx2 v[24:25], v28, s[6:7] offset:24 glc
	s_waitcnt vmcnt(0)
	buffer_wbinvl1_vol
	global_load_dwordx2 v[6:7], v28, s[6:7] offset:40
	global_load_dwordx2 v[22:23], v28, s[6:7]
	s_waitcnt vmcnt(1)
	v_and_b32_e32 v6, v6, v24
	v_and_b32_e32 v7, v7, v25
	v_mul_lo_u32 v7, v7, 24
	v_mul_hi_u32 v27, v6, 24
	v_mul_lo_u32 v6, v6, 24
	v_add_u32_e32 v7, v27, v7
	s_waitcnt vmcnt(0)
	v_add_co_u32_e32 v6, vcc, v22, v6
	v_addc_co_u32_e32 v7, vcc, v23, v7, vcc
	global_load_dwordx2 v[22:23], v[6:7], off glc
	s_waitcnt vmcnt(0)
	global_atomic_cmpswap_x2 v[6:7], v28, v[22:25], s[6:7] offset:24 glc
	s_waitcnt vmcnt(0)
	buffer_wbinvl1_vol
	v_cmp_ne_u64_e32 vcc, v[6:7], v[24:25]
	s_and_saveexec_b64 s[16:17], vcc
	s_cbranch_execz .LBB3_507
; %bb.504:                              ;   in Loop: Header=BB3_446 Depth=1
	s_mov_b64 s[18:19], 0
.LBB3_505:                              ;   Parent Loop BB3_446 Depth=1
                                        ; =>  This Inner Loop Header: Depth=2
	s_sleep 1
	global_load_dwordx2 v[22:23], v28, s[6:7] offset:40
	global_load_dwordx2 v[29:30], v28, s[6:7]
	v_mov_b32_e32 v25, v7
	v_mov_b32_e32 v24, v6
	s_waitcnt vmcnt(1)
	v_and_b32_e32 v6, v22, v24
	s_waitcnt vmcnt(0)
	v_mad_u64_u32 v[6:7], s[20:21], v6, 24, v[29:30]
	v_and_b32_e32 v22, v23, v25
	v_mad_u64_u32 v[22:23], s[20:21], v22, 24, v[7:8]
	v_mov_b32_e32 v7, v22
	global_load_dwordx2 v[22:23], v[6:7], off glc
	s_waitcnt vmcnt(0)
	global_atomic_cmpswap_x2 v[6:7], v28, v[22:25], s[6:7] offset:24 glc
	s_waitcnt vmcnt(0)
	buffer_wbinvl1_vol
	v_cmp_eq_u64_e32 vcc, v[6:7], v[24:25]
	s_or_b64 s[18:19], vcc, s[18:19]
	s_andn2_b64 exec, exec, s[18:19]
	s_cbranch_execnz .LBB3_505
; %bb.506:                              ;   in Loop: Header=BB3_446 Depth=1
	s_or_b64 exec, exec, s[18:19]
.LBB3_507:                              ;   in Loop: Header=BB3_446 Depth=1
	s_or_b64 exec, exec, s[16:17]
.LBB3_508:                              ;   in Loop: Header=BB3_446 Depth=1
	s_or_b64 exec, exec, s[14:15]
	global_load_dwordx2 v[29:30], v28, s[6:7] offset:40
	global_load_dwordx4 v[22:25], v28, s[6:7]
	v_readfirstlane_b32 s15, v7
	v_readfirstlane_b32 s14, v6
	s_mov_b64 s[16:17], exec
	s_waitcnt vmcnt(1)
	v_readfirstlane_b32 s18, v29
	v_readfirstlane_b32 s19, v30
	s_and_b64 s[18:19], s[18:19], s[14:15]
	s_mul_i32 s20, s19, 24
	s_mul_hi_u32 s21, s18, 24
	s_mul_i32 s22, s18, 24
	s_add_i32 s20, s21, s20
	v_mov_b32_e32 v6, s20
	s_waitcnt vmcnt(0)
	v_add_co_u32_e32 v29, vcc, s22, v22
	v_addc_co_u32_e32 v30, vcc, v23, v6, vcc
	s_and_saveexec_b64 s[20:21], s[2:3]
	s_cbranch_execz .LBB3_510
; %bb.509:                              ;   in Loop: Header=BB3_446 Depth=1
	v_mov_b32_e32 v6, s16
	v_mov_b32_e32 v7, s17
	global_store_dwordx4 v[29:30], v[6:9], off offset:8
.LBB3_510:                              ;   in Loop: Header=BB3_446 Depth=1
	s_or_b64 exec, exec, s[20:21]
	s_lshl_b64 s[16:17], s[18:19], 12
	v_mov_b32_e32 v6, s17
	v_add_co_u32_e32 v24, vcc, s16, v24
	v_addc_co_u32_e32 v25, vcc, v25, v6, vcc
	v_cmp_lt_u64_e64 vcc, s[8:9], 57
	s_lshl_b32 s16, s12, 2
	v_cndmask_b32_e32 v6, 0, v34, vcc
	s_add_i32 s16, s16, 28
	v_and_b32_e32 v2, 0xffffff1f, v2
	s_and_b32 s16, s16, 0x1e0
	v_or_b32_e32 v2, v2, v6
	v_or_b32_e32 v2, s16, v2
	v_readfirstlane_b32 s16, v24
	v_readfirstlane_b32 s17, v25
	s_nop 4
	global_store_dwordx4 v32, v[2:5], s[16:17]
	global_store_dwordx4 v32, v[10:13], s[16:17] offset:16
	global_store_dwordx4 v32, v[14:17], s[16:17] offset:32
	;; [unrolled: 1-line block ×3, first 2 shown]
	s_and_saveexec_b64 s[16:17], s[2:3]
	s_cbranch_execz .LBB3_518
; %bb.511:                              ;   in Loop: Header=BB3_446 Depth=1
	global_load_dwordx2 v[12:13], v28, s[6:7] offset:32 glc
	global_load_dwordx2 v[2:3], v28, s[6:7] offset:40
	v_mov_b32_e32 v10, s14
	v_mov_b32_e32 v11, s15
	s_waitcnt vmcnt(0)
	v_readfirstlane_b32 s18, v2
	v_readfirstlane_b32 s19, v3
	s_and_b64 s[18:19], s[18:19], s[14:15]
	s_mul_i32 s19, s19, 24
	s_mul_hi_u32 s20, s18, 24
	s_mul_i32 s18, s18, 24
	s_add_i32 s19, s20, s19
	v_mov_b32_e32 v2, s19
	v_add_co_u32_e32 v6, vcc, s18, v22
	v_addc_co_u32_e32 v7, vcc, v23, v2, vcc
	global_store_dwordx2 v[6:7], v[12:13], off
	s_waitcnt vmcnt(0)
	global_atomic_cmpswap_x2 v[4:5], v28, v[10:13], s[6:7] offset:32 glc
	s_waitcnt vmcnt(0)
	v_cmp_ne_u64_e32 vcc, v[4:5], v[12:13]
	s_and_saveexec_b64 s[18:19], vcc
	s_cbranch_execz .LBB3_514
; %bb.512:                              ;   in Loop: Header=BB3_446 Depth=1
	s_mov_b64 s[20:21], 0
.LBB3_513:                              ;   Parent Loop BB3_446 Depth=1
                                        ; =>  This Inner Loop Header: Depth=2
	s_sleep 1
	global_store_dwordx2 v[6:7], v[4:5], off
	v_mov_b32_e32 v2, s14
	v_mov_b32_e32 v3, s15
	s_waitcnt vmcnt(0)
	global_atomic_cmpswap_x2 v[2:3], v28, v[2:5], s[6:7] offset:32 glc
	s_waitcnt vmcnt(0)
	v_cmp_eq_u64_e32 vcc, v[2:3], v[4:5]
	v_mov_b32_e32 v5, v3
	s_or_b64 s[20:21], vcc, s[20:21]
	v_mov_b32_e32 v4, v2
	s_andn2_b64 exec, exec, s[20:21]
	s_cbranch_execnz .LBB3_513
.LBB3_514:                              ;   in Loop: Header=BB3_446 Depth=1
	s_or_b64 exec, exec, s[18:19]
	global_load_dwordx2 v[2:3], v28, s[6:7] offset:16
	s_mov_b64 s[20:21], exec
	v_mbcnt_lo_u32_b32 v4, s20, 0
	v_mbcnt_hi_u32_b32 v4, s21, v4
	v_cmp_eq_u32_e32 vcc, 0, v4
	s_and_saveexec_b64 s[18:19], vcc
	s_cbranch_execz .LBB3_516
; %bb.515:                              ;   in Loop: Header=BB3_446 Depth=1
	s_bcnt1_i32_b64 s20, s[20:21]
	v_mov_b32_e32 v27, s20
	s_waitcnt vmcnt(0)
	global_atomic_add_x2 v[2:3], v[27:28], off offset:8
.LBB3_516:                              ;   in Loop: Header=BB3_446 Depth=1
	s_or_b64 exec, exec, s[18:19]
	s_waitcnt vmcnt(0)
	global_load_dwordx2 v[4:5], v[2:3], off offset:16
	s_waitcnt vmcnt(0)
	v_cmp_eq_u64_e32 vcc, 0, v[4:5]
	s_cbranch_vccnz .LBB3_518
; %bb.517:                              ;   in Loop: Header=BB3_446 Depth=1
	global_load_dword v27, v[2:3], off offset:24
	s_waitcnt vmcnt(0)
	v_readfirstlane_b32 s18, v27
	s_and_b32 m0, s18, 0xffffff
	global_store_dwordx2 v[4:5], v[27:28], off
	s_sendmsg sendmsg(MSG_INTERRUPT)
.LBB3_518:                              ;   in Loop: Header=BB3_446 Depth=1
	s_or_b64 exec, exec, s[16:17]
	v_add_co_u32_e32 v2, vcc, v24, v32
	v_addc_co_u32_e32 v3, vcc, 0, v25, vcc
	s_branch .LBB3_522
.LBB3_519:                              ;   in Loop: Header=BB3_522 Depth=2
	s_or_b64 exec, exec, s[16:17]
	v_readfirstlane_b32 s16, v4
	s_cmp_eq_u32 s16, 0
	s_cbranch_scc1 .LBB3_521
; %bb.520:                              ;   in Loop: Header=BB3_522 Depth=2
	s_sleep 1
	s_cbranch_execnz .LBB3_522
	s_branch .LBB3_524
.LBB3_521:                              ;   in Loop: Header=BB3_446 Depth=1
	s_branch .LBB3_524
.LBB3_522:                              ;   Parent Loop BB3_446 Depth=1
                                        ; =>  This Inner Loop Header: Depth=2
	v_mov_b32_e32 v4, 1
	s_and_saveexec_b64 s[16:17], s[2:3]
	s_cbranch_execz .LBB3_519
; %bb.523:                              ;   in Loop: Header=BB3_522 Depth=2
	global_load_dword v4, v[29:30], off offset:20 glc
	s_waitcnt vmcnt(0)
	buffer_wbinvl1_vol
	v_and_b32_e32 v4, 1, v4
	s_branch .LBB3_519
.LBB3_524:                              ;   in Loop: Header=BB3_446 Depth=1
	global_load_dwordx2 v[2:3], v[2:3], off
	s_and_saveexec_b64 s[16:17], s[2:3]
	s_cbranch_execz .LBB3_445
; %bb.525:                              ;   in Loop: Header=BB3_446 Depth=1
	global_load_dwordx2 v[4:5], v28, s[6:7] offset:40
	global_load_dwordx2 v[14:15], v28, s[6:7] offset:24 glc
	global_load_dwordx2 v[6:7], v28, s[6:7]
	s_waitcnt vmcnt(2)
	v_readfirstlane_b32 s18, v4
	v_readfirstlane_b32 s19, v5
	s_add_u32 s20, s18, 1
	s_addc_u32 s21, s19, 0
	s_add_u32 s2, s20, s14
	s_addc_u32 s3, s21, s15
	s_cmp_eq_u64 s[2:3], 0
	s_cselect_b32 s3, s21, s3
	s_cselect_b32 s2, s20, s2
	s_and_b64 s[14:15], s[2:3], s[18:19]
	s_mul_i32 s15, s15, 24
	s_mul_hi_u32 s18, s14, 24
	s_mul_i32 s14, s14, 24
	s_add_i32 s15, s18, s15
	v_mov_b32_e32 v4, s15
	s_waitcnt vmcnt(0)
	v_add_co_u32_e32 v10, vcc, s14, v6
	v_addc_co_u32_e32 v11, vcc, v7, v4, vcc
	v_mov_b32_e32 v12, s2
	global_store_dwordx2 v[10:11], v[14:15], off
	v_mov_b32_e32 v13, s3
	s_waitcnt vmcnt(0)
	global_atomic_cmpswap_x2 v[6:7], v28, v[12:15], s[6:7] offset:24 glc
	s_waitcnt vmcnt(0)
	v_cmp_ne_u64_e32 vcc, v[6:7], v[14:15]
	s_and_b64 exec, exec, vcc
	s_cbranch_execz .LBB3_445
; %bb.526:                              ;   in Loop: Header=BB3_446 Depth=1
	s_mov_b64 s[14:15], 0
.LBB3_527:                              ;   Parent Loop BB3_446 Depth=1
                                        ; =>  This Inner Loop Header: Depth=2
	s_sleep 1
	global_store_dwordx2 v[10:11], v[6:7], off
	v_mov_b32_e32 v4, s2
	v_mov_b32_e32 v5, s3
	s_waitcnt vmcnt(0)
	global_atomic_cmpswap_x2 v[4:5], v28, v[4:7], s[6:7] offset:24 glc
	s_waitcnt vmcnt(0)
	v_cmp_eq_u64_e32 vcc, v[4:5], v[6:7]
	v_mov_b32_e32 v7, v5
	s_or_b64 s[14:15], vcc, s[14:15]
	v_mov_b32_e32 v6, v4
	s_andn2_b64 exec, exec, s[14:15]
	s_cbranch_execnz .LBB3_527
	s_branch .LBB3_445
.LBB3_528:
	s_branch .LBB3_556
.LBB3_529:
                                        ; implicit-def: $vgpr2_vgpr3
	s_cbranch_execz .LBB3_556
; %bb.530:
	v_readfirstlane_b32 s2, v33
	v_mov_b32_e32 v8, 0
	v_mov_b32_e32 v9, 0
	v_cmp_eq_u32_e64 s[2:3], s2, v33
	s_and_saveexec_b64 s[8:9], s[2:3]
	s_cbranch_execz .LBB3_536
; %bb.531:
	s_waitcnt vmcnt(0)
	v_mov_b32_e32 v2, 0
	global_load_dwordx2 v[5:6], v2, s[6:7] offset:24 glc
	s_waitcnt vmcnt(0)
	buffer_wbinvl1_vol
	global_load_dwordx2 v[3:4], v2, s[6:7] offset:40
	global_load_dwordx2 v[7:8], v2, s[6:7]
	s_waitcnt vmcnt(1)
	v_and_b32_e32 v3, v3, v5
	v_and_b32_e32 v4, v4, v6
	v_mul_lo_u32 v4, v4, 24
	v_mul_hi_u32 v9, v3, 24
	v_mul_lo_u32 v3, v3, 24
	v_add_u32_e32 v4, v9, v4
	s_waitcnt vmcnt(0)
	v_add_co_u32_e32 v3, vcc, v7, v3
	v_addc_co_u32_e32 v4, vcc, v8, v4, vcc
	global_load_dwordx2 v[3:4], v[3:4], off glc
	s_waitcnt vmcnt(0)
	global_atomic_cmpswap_x2 v[8:9], v2, v[3:6], s[6:7] offset:24 glc
	s_waitcnt vmcnt(0)
	buffer_wbinvl1_vol
	v_cmp_ne_u64_e32 vcc, v[8:9], v[5:6]
	s_and_saveexec_b64 s[10:11], vcc
	s_cbranch_execz .LBB3_535
; %bb.532:
	s_mov_b64 s[12:13], 0
.LBB3_533:                              ; =>This Inner Loop Header: Depth=1
	s_sleep 1
	global_load_dwordx2 v[3:4], v2, s[6:7] offset:40
	global_load_dwordx2 v[10:11], v2, s[6:7]
	v_mov_b32_e32 v5, v8
	v_mov_b32_e32 v6, v9
	s_waitcnt vmcnt(1)
	v_and_b32_e32 v3, v3, v5
	s_waitcnt vmcnt(0)
	v_mad_u64_u32 v[7:8], s[14:15], v3, 24, v[10:11]
	v_and_b32_e32 v4, v4, v6
	v_mov_b32_e32 v3, v8
	v_mad_u64_u32 v[3:4], s[14:15], v4, 24, v[3:4]
	v_mov_b32_e32 v8, v3
	global_load_dwordx2 v[3:4], v[7:8], off glc
	s_waitcnt vmcnt(0)
	global_atomic_cmpswap_x2 v[8:9], v2, v[3:6], s[6:7] offset:24 glc
	s_waitcnt vmcnt(0)
	buffer_wbinvl1_vol
	v_cmp_eq_u64_e32 vcc, v[8:9], v[5:6]
	s_or_b64 s[12:13], vcc, s[12:13]
	s_andn2_b64 exec, exec, s[12:13]
	s_cbranch_execnz .LBB3_533
; %bb.534:
	s_or_b64 exec, exec, s[12:13]
.LBB3_535:
	s_or_b64 exec, exec, s[10:11]
.LBB3_536:
	s_or_b64 exec, exec, s[8:9]
	s_waitcnt vmcnt(0)
	v_mov_b32_e32 v2, 0
	global_load_dwordx2 v[10:11], v2, s[6:7] offset:40
	global_load_dwordx4 v[4:7], v2, s[6:7]
	v_readfirstlane_b32 s9, v9
	v_readfirstlane_b32 s8, v8
	s_mov_b64 s[10:11], exec
	s_waitcnt vmcnt(1)
	v_readfirstlane_b32 s12, v10
	v_readfirstlane_b32 s13, v11
	s_and_b64 s[12:13], s[12:13], s[8:9]
	s_mul_i32 s14, s13, 24
	s_mul_hi_u32 s15, s12, 24
	s_mul_i32 s16, s12, 24
	s_add_i32 s14, s15, s14
	v_mov_b32_e32 v3, s14
	s_waitcnt vmcnt(0)
	v_add_co_u32_e32 v8, vcc, s16, v4
	v_addc_co_u32_e32 v9, vcc, v5, v3, vcc
	s_and_saveexec_b64 s[14:15], s[2:3]
	s_cbranch_execz .LBB3_538
; %bb.537:
	v_mov_b32_e32 v10, s10
	v_mov_b32_e32 v11, s11
	v_mov_b32_e32 v12, 2
	v_mov_b32_e32 v13, 1
	global_store_dwordx4 v[8:9], v[10:13], off offset:8
.LBB3_538:
	s_or_b64 exec, exec, s[14:15]
	s_lshl_b64 s[10:11], s[12:13], 12
	v_mov_b32_e32 v3, s11
	v_add_co_u32_e32 v10, vcc, s10, v6
	v_addc_co_u32_e32 v11, vcc, v7, v3, vcc
	s_movk_i32 s10, 0xff1f
	v_and_or_b32 v0, v0, s10, 32
	s_mov_b32 s12, 0
	v_mov_b32_e32 v3, v2
	v_readfirstlane_b32 s10, v10
	v_readfirstlane_b32 s11, v11
	v_add_co_u32_e32 v6, vcc, v10, v32
	s_mov_b32 s13, s12
	s_mov_b32 s14, s12
	;; [unrolled: 1-line block ×3, first 2 shown]
	s_nop 0
	global_store_dwordx4 v32, v[0:3], s[10:11]
	v_addc_co_u32_e32 v7, vcc, 0, v11, vcc
	v_mov_b32_e32 v0, s12
	v_mov_b32_e32 v1, s13
	;; [unrolled: 1-line block ×4, first 2 shown]
	global_store_dwordx4 v32, v[0:3], s[10:11] offset:16
	global_store_dwordx4 v32, v[0:3], s[10:11] offset:32
	;; [unrolled: 1-line block ×3, first 2 shown]
	s_and_saveexec_b64 s[10:11], s[2:3]
	s_cbranch_execz .LBB3_546
; %bb.539:
	v_mov_b32_e32 v10, 0
	global_load_dwordx2 v[13:14], v10, s[6:7] offset:32 glc
	global_load_dwordx2 v[0:1], v10, s[6:7] offset:40
	v_mov_b32_e32 v11, s8
	v_mov_b32_e32 v12, s9
	s_waitcnt vmcnt(0)
	v_readfirstlane_b32 s12, v0
	v_readfirstlane_b32 s13, v1
	s_and_b64 s[12:13], s[12:13], s[8:9]
	s_mul_i32 s13, s13, 24
	s_mul_hi_u32 s14, s12, 24
	s_mul_i32 s12, s12, 24
	s_add_i32 s13, s14, s13
	v_mov_b32_e32 v0, s13
	v_add_co_u32_e32 v4, vcc, s12, v4
	v_addc_co_u32_e32 v5, vcc, v5, v0, vcc
	global_store_dwordx2 v[4:5], v[13:14], off
	s_waitcnt vmcnt(0)
	global_atomic_cmpswap_x2 v[2:3], v10, v[11:14], s[6:7] offset:32 glc
	s_waitcnt vmcnt(0)
	v_cmp_ne_u64_e32 vcc, v[2:3], v[13:14]
	s_and_saveexec_b64 s[12:13], vcc
	s_cbranch_execz .LBB3_542
; %bb.540:
	s_mov_b64 s[14:15], 0
.LBB3_541:                              ; =>This Inner Loop Header: Depth=1
	s_sleep 1
	global_store_dwordx2 v[4:5], v[2:3], off
	v_mov_b32_e32 v0, s8
	v_mov_b32_e32 v1, s9
	s_waitcnt vmcnt(0)
	global_atomic_cmpswap_x2 v[0:1], v10, v[0:3], s[6:7] offset:32 glc
	s_waitcnt vmcnt(0)
	v_cmp_eq_u64_e32 vcc, v[0:1], v[2:3]
	v_mov_b32_e32 v3, v1
	s_or_b64 s[14:15], vcc, s[14:15]
	v_mov_b32_e32 v2, v0
	s_andn2_b64 exec, exec, s[14:15]
	s_cbranch_execnz .LBB3_541
.LBB3_542:
	s_or_b64 exec, exec, s[12:13]
	v_mov_b32_e32 v3, 0
	global_load_dwordx2 v[0:1], v3, s[6:7] offset:16
	s_mov_b64 s[12:13], exec
	v_mbcnt_lo_u32_b32 v2, s12, 0
	v_mbcnt_hi_u32_b32 v2, s13, v2
	v_cmp_eq_u32_e32 vcc, 0, v2
	s_and_saveexec_b64 s[14:15], vcc
	s_cbranch_execz .LBB3_544
; %bb.543:
	s_bcnt1_i32_b64 s12, s[12:13]
	v_mov_b32_e32 v2, s12
	s_waitcnt vmcnt(0)
	global_atomic_add_x2 v[0:1], v[2:3], off offset:8
.LBB3_544:
	s_or_b64 exec, exec, s[14:15]
	s_waitcnt vmcnt(0)
	global_load_dwordx2 v[2:3], v[0:1], off offset:16
	s_waitcnt vmcnt(0)
	v_cmp_eq_u64_e32 vcc, 0, v[2:3]
	s_cbranch_vccnz .LBB3_546
; %bb.545:
	global_load_dword v0, v[0:1], off offset:24
	v_mov_b32_e32 v1, 0
	s_waitcnt vmcnt(0)
	v_readfirstlane_b32 s12, v0
	s_and_b32 m0, s12, 0xffffff
	global_store_dwordx2 v[2:3], v[0:1], off
	s_sendmsg sendmsg(MSG_INTERRUPT)
.LBB3_546:
	s_or_b64 exec, exec, s[10:11]
	s_branch .LBB3_550
.LBB3_547:                              ;   in Loop: Header=BB3_550 Depth=1
	s_or_b64 exec, exec, s[10:11]
	v_readfirstlane_b32 s10, v0
	s_cmp_eq_u32 s10, 0
	s_cbranch_scc1 .LBB3_549
; %bb.548:                              ;   in Loop: Header=BB3_550 Depth=1
	s_sleep 1
	s_cbranch_execnz .LBB3_550
	s_branch .LBB3_552
.LBB3_549:
	s_branch .LBB3_552
.LBB3_550:                              ; =>This Inner Loop Header: Depth=1
	v_mov_b32_e32 v0, 1
	s_and_saveexec_b64 s[10:11], s[2:3]
	s_cbranch_execz .LBB3_547
; %bb.551:                              ;   in Loop: Header=BB3_550 Depth=1
	global_load_dword v0, v[8:9], off offset:20 glc
	s_waitcnt vmcnt(0)
	buffer_wbinvl1_vol
	v_and_b32_e32 v0, 1, v0
	s_branch .LBB3_547
.LBB3_552:
	global_load_dwordx2 v[2:3], v[6:7], off
	s_and_saveexec_b64 s[10:11], s[2:3]
	s_cbranch_execz .LBB3_555
; %bb.553:
	v_mov_b32_e32 v8, 0
	global_load_dwordx2 v[0:1], v8, s[6:7] offset:40
	global_load_dwordx2 v[11:12], v8, s[6:7] offset:24 glc
	global_load_dwordx2 v[4:5], v8, s[6:7]
	s_waitcnt vmcnt(2)
	v_readfirstlane_b32 s12, v0
	v_readfirstlane_b32 s13, v1
	s_add_u32 s14, s12, 1
	s_addc_u32 s15, s13, 0
	s_add_u32 s2, s14, s8
	s_addc_u32 s3, s15, s9
	s_cmp_eq_u64 s[2:3], 0
	s_cselect_b32 s3, s15, s3
	s_cselect_b32 s2, s14, s2
	s_and_b64 s[8:9], s[2:3], s[12:13]
	s_mul_i32 s9, s9, 24
	s_mul_hi_u32 s12, s8, 24
	s_mul_i32 s8, s8, 24
	s_add_i32 s9, s12, s9
	v_mov_b32_e32 v1, s9
	s_waitcnt vmcnt(0)
	v_add_co_u32_e32 v0, vcc, s8, v4
	v_addc_co_u32_e32 v1, vcc, v5, v1, vcc
	v_mov_b32_e32 v9, s2
	global_store_dwordx2 v[0:1], v[11:12], off
	v_mov_b32_e32 v10, s3
	s_waitcnt vmcnt(0)
	global_atomic_cmpswap_x2 v[6:7], v8, v[9:12], s[6:7] offset:24 glc
	s_mov_b64 s[8:9], 0
	s_waitcnt vmcnt(0)
	v_cmp_ne_u64_e32 vcc, v[6:7], v[11:12]
	s_and_b64 exec, exec, vcc
	s_cbranch_execz .LBB3_555
.LBB3_554:                              ; =>This Inner Loop Header: Depth=1
	s_sleep 1
	global_store_dwordx2 v[0:1], v[6:7], off
	v_mov_b32_e32 v4, s2
	v_mov_b32_e32 v5, s3
	s_waitcnt vmcnt(0)
	global_atomic_cmpswap_x2 v[4:5], v8, v[4:7], s[6:7] offset:24 glc
	s_waitcnt vmcnt(0)
	v_cmp_eq_u64_e32 vcc, v[4:5], v[6:7]
	v_mov_b32_e32 v7, v5
	s_or_b64 s[8:9], vcc, s[8:9]
	v_mov_b32_e32 v6, v4
	s_andn2_b64 exec, exec, s[8:9]
	s_cbranch_execnz .LBB3_554
.LBB3_555:
	s_or_b64 exec, exec, s[10:11]
.LBB3_556:
	v_readfirstlane_b32 s2, v33
	s_waitcnt vmcnt(0)
	v_mov_b32_e32 v0, 0
	v_mov_b32_e32 v1, 0
	v_cmp_eq_u32_e64 s[2:3], s2, v33
	s_and_saveexec_b64 s[8:9], s[2:3]
	s_cbranch_execz .LBB3_562
; %bb.557:
	v_mov_b32_e32 v4, 0
	global_load_dwordx2 v[7:8], v4, s[6:7] offset:24 glc
	s_waitcnt vmcnt(0)
	buffer_wbinvl1_vol
	global_load_dwordx2 v[0:1], v4, s[6:7] offset:40
	global_load_dwordx2 v[5:6], v4, s[6:7]
	s_waitcnt vmcnt(1)
	v_and_b32_e32 v0, v0, v7
	v_and_b32_e32 v1, v1, v8
	v_mul_lo_u32 v1, v1, 24
	v_mul_hi_u32 v9, v0, 24
	v_mul_lo_u32 v0, v0, 24
	v_add_u32_e32 v1, v9, v1
	s_waitcnt vmcnt(0)
	v_add_co_u32_e32 v0, vcc, v5, v0
	v_addc_co_u32_e32 v1, vcc, v6, v1, vcc
	global_load_dwordx2 v[5:6], v[0:1], off glc
	s_waitcnt vmcnt(0)
	global_atomic_cmpswap_x2 v[0:1], v4, v[5:8], s[6:7] offset:24 glc
	s_waitcnt vmcnt(0)
	buffer_wbinvl1_vol
	v_cmp_ne_u64_e32 vcc, v[0:1], v[7:8]
	s_and_saveexec_b64 s[10:11], vcc
	s_cbranch_execz .LBB3_561
; %bb.558:
	s_mov_b64 s[12:13], 0
.LBB3_559:                              ; =>This Inner Loop Header: Depth=1
	s_sleep 1
	global_load_dwordx2 v[5:6], v4, s[6:7] offset:40
	global_load_dwordx2 v[9:10], v4, s[6:7]
	v_mov_b32_e32 v8, v1
	v_mov_b32_e32 v7, v0
	s_waitcnt vmcnt(1)
	v_and_b32_e32 v0, v5, v7
	s_waitcnt vmcnt(0)
	v_mad_u64_u32 v[0:1], s[14:15], v0, 24, v[9:10]
	v_and_b32_e32 v5, v6, v8
	v_mad_u64_u32 v[5:6], s[14:15], v5, 24, v[1:2]
	v_mov_b32_e32 v1, v5
	global_load_dwordx2 v[5:6], v[0:1], off glc
	s_waitcnt vmcnt(0)
	global_atomic_cmpswap_x2 v[0:1], v4, v[5:8], s[6:7] offset:24 glc
	s_waitcnt vmcnt(0)
	buffer_wbinvl1_vol
	v_cmp_eq_u64_e32 vcc, v[0:1], v[7:8]
	s_or_b64 s[12:13], vcc, s[12:13]
	s_andn2_b64 exec, exec, s[12:13]
	s_cbranch_execnz .LBB3_559
; %bb.560:
	s_or_b64 exec, exec, s[12:13]
.LBB3_561:
	s_or_b64 exec, exec, s[10:11]
.LBB3_562:
	s_or_b64 exec, exec, s[8:9]
	v_mov_b32_e32 v5, 0
	global_load_dwordx2 v[10:11], v5, s[6:7] offset:40
	global_load_dwordx4 v[6:9], v5, s[6:7]
	v_readfirstlane_b32 s9, v1
	v_readfirstlane_b32 s8, v0
	s_mov_b64 s[10:11], exec
	s_waitcnt vmcnt(1)
	v_readfirstlane_b32 s12, v10
	v_readfirstlane_b32 s13, v11
	s_and_b64 s[12:13], s[12:13], s[8:9]
	s_mul_i32 s14, s13, 24
	s_mul_hi_u32 s15, s12, 24
	s_mul_i32 s16, s12, 24
	s_add_i32 s14, s15, s14
	v_mov_b32_e32 v0, s14
	s_waitcnt vmcnt(0)
	v_add_co_u32_e32 v10, vcc, s16, v6
	v_addc_co_u32_e32 v11, vcc, v7, v0, vcc
	s_and_saveexec_b64 s[14:15], s[2:3]
	s_cbranch_execz .LBB3_564
; %bb.563:
	v_mov_b32_e32 v13, s11
	v_mov_b32_e32 v12, s10
	;; [unrolled: 1-line block ×4, first 2 shown]
	global_store_dwordx4 v[10:11], v[12:15], off offset:8
.LBB3_564:
	s_or_b64 exec, exec, s[14:15]
	s_lshl_b64 s[10:11], s[12:13], 12
	v_mov_b32_e32 v0, s11
	v_add_co_u32_e32 v1, vcc, s10, v8
	v_addc_co_u32_e32 v0, vcc, v9, v0, vcc
	s_movk_i32 s10, 0xff1f
	v_and_or_b32 v2, v2, s10, 32
	v_add_co_u32_e32 v8, vcc, v1, v32
	s_mov_b32 s12, 0
	v_mov_b32_e32 v4, 3
	v_readfirstlane_b32 s10, v1
	v_readfirstlane_b32 s11, v0
	v_addc_co_u32_e32 v9, vcc, 0, v0, vcc
	s_mov_b32 s13, s12
	s_mov_b32 s14, s12
	;; [unrolled: 1-line block ×3, first 2 shown]
	s_nop 0
	global_store_dwordx4 v32, v[2:5], s[10:11]
	v_mov_b32_e32 v0, s12
	v_mov_b32_e32 v1, s13
	;; [unrolled: 1-line block ×4, first 2 shown]
	global_store_dwordx4 v32, v[0:3], s[10:11] offset:16
	global_store_dwordx4 v32, v[0:3], s[10:11] offset:32
	;; [unrolled: 1-line block ×3, first 2 shown]
	s_and_saveexec_b64 s[10:11], s[2:3]
	s_cbranch_execz .LBB3_572
; %bb.565:
	v_mov_b32_e32 v12, 0
	global_load_dwordx2 v[15:16], v12, s[6:7] offset:32 glc
	global_load_dwordx2 v[0:1], v12, s[6:7] offset:40
	v_mov_b32_e32 v13, s8
	v_mov_b32_e32 v14, s9
	s_waitcnt vmcnt(0)
	v_readfirstlane_b32 s12, v0
	v_readfirstlane_b32 s13, v1
	s_and_b64 s[12:13], s[12:13], s[8:9]
	s_mul_i32 s13, s13, 24
	s_mul_hi_u32 s14, s12, 24
	s_mul_i32 s12, s12, 24
	s_add_i32 s13, s14, s13
	v_mov_b32_e32 v0, s13
	v_add_co_u32_e32 v4, vcc, s12, v6
	v_addc_co_u32_e32 v5, vcc, v7, v0, vcc
	global_store_dwordx2 v[4:5], v[15:16], off
	s_waitcnt vmcnt(0)
	global_atomic_cmpswap_x2 v[2:3], v12, v[13:16], s[6:7] offset:32 glc
	s_waitcnt vmcnt(0)
	v_cmp_ne_u64_e32 vcc, v[2:3], v[15:16]
	s_and_saveexec_b64 s[12:13], vcc
	s_cbranch_execz .LBB3_568
; %bb.566:
	s_mov_b64 s[14:15], 0
.LBB3_567:                              ; =>This Inner Loop Header: Depth=1
	s_sleep 1
	global_store_dwordx2 v[4:5], v[2:3], off
	v_mov_b32_e32 v0, s8
	v_mov_b32_e32 v1, s9
	s_waitcnt vmcnt(0)
	global_atomic_cmpswap_x2 v[0:1], v12, v[0:3], s[6:7] offset:32 glc
	s_waitcnt vmcnt(0)
	v_cmp_eq_u64_e32 vcc, v[0:1], v[2:3]
	v_mov_b32_e32 v3, v1
	s_or_b64 s[14:15], vcc, s[14:15]
	v_mov_b32_e32 v2, v0
	s_andn2_b64 exec, exec, s[14:15]
	s_cbranch_execnz .LBB3_567
.LBB3_568:
	s_or_b64 exec, exec, s[12:13]
	v_mov_b32_e32 v3, 0
	global_load_dwordx2 v[0:1], v3, s[6:7] offset:16
	s_mov_b64 s[12:13], exec
	v_mbcnt_lo_u32_b32 v2, s12, 0
	v_mbcnt_hi_u32_b32 v2, s13, v2
	v_cmp_eq_u32_e32 vcc, 0, v2
	s_and_saveexec_b64 s[14:15], vcc
	s_cbranch_execz .LBB3_570
; %bb.569:
	s_bcnt1_i32_b64 s12, s[12:13]
	v_mov_b32_e32 v2, s12
	s_waitcnt vmcnt(0)
	global_atomic_add_x2 v[0:1], v[2:3], off offset:8
.LBB3_570:
	s_or_b64 exec, exec, s[14:15]
	s_waitcnt vmcnt(0)
	global_load_dwordx2 v[2:3], v[0:1], off offset:16
	s_waitcnt vmcnt(0)
	v_cmp_eq_u64_e32 vcc, 0, v[2:3]
	s_cbranch_vccnz .LBB3_572
; %bb.571:
	global_load_dword v0, v[0:1], off offset:24
	v_mov_b32_e32 v1, 0
	s_waitcnt vmcnt(0)
	v_readfirstlane_b32 s12, v0
	s_and_b32 m0, s12, 0xffffff
	global_store_dwordx2 v[2:3], v[0:1], off
	s_sendmsg sendmsg(MSG_INTERRUPT)
.LBB3_572:
	s_or_b64 exec, exec, s[10:11]
	s_branch .LBB3_576
.LBB3_573:                              ;   in Loop: Header=BB3_576 Depth=1
	s_or_b64 exec, exec, s[10:11]
	v_readfirstlane_b32 s10, v0
	s_cmp_eq_u32 s10, 0
	s_cbranch_scc1 .LBB3_575
; %bb.574:                              ;   in Loop: Header=BB3_576 Depth=1
	s_sleep 1
	s_cbranch_execnz .LBB3_576
	s_branch .LBB3_578
.LBB3_575:
	s_branch .LBB3_578
.LBB3_576:                              ; =>This Inner Loop Header: Depth=1
	v_mov_b32_e32 v0, 1
	s_and_saveexec_b64 s[10:11], s[2:3]
	s_cbranch_execz .LBB3_573
; %bb.577:                              ;   in Loop: Header=BB3_576 Depth=1
	global_load_dword v0, v[10:11], off offset:20 glc
	s_waitcnt vmcnt(0)
	buffer_wbinvl1_vol
	v_and_b32_e32 v0, 1, v0
	s_branch .LBB3_573
.LBB3_578:
	global_load_dwordx2 v[0:1], v[8:9], off
	s_and_saveexec_b64 s[10:11], s[2:3]
	s_cbranch_execz .LBB3_581
; %bb.579:
	v_mov_b32_e32 v8, 0
	global_load_dwordx2 v[2:3], v8, s[6:7] offset:40
	global_load_dwordx2 v[11:12], v8, s[6:7] offset:24 glc
	global_load_dwordx2 v[4:5], v8, s[6:7]
	s_waitcnt vmcnt(2)
	v_readfirstlane_b32 s12, v2
	v_readfirstlane_b32 s13, v3
	s_add_u32 s14, s12, 1
	s_addc_u32 s15, s13, 0
	s_add_u32 s2, s14, s8
	s_addc_u32 s3, s15, s9
	s_cmp_eq_u64 s[2:3], 0
	s_cselect_b32 s3, s15, s3
	s_cselect_b32 s2, s14, s2
	s_and_b64 s[8:9], s[2:3], s[12:13]
	s_mul_i32 s9, s9, 24
	s_mul_hi_u32 s12, s8, 24
	s_mul_i32 s8, s8, 24
	s_add_i32 s9, s12, s9
	v_mov_b32_e32 v2, s9
	s_waitcnt vmcnt(0)
	v_add_co_u32_e32 v6, vcc, s8, v4
	v_addc_co_u32_e32 v7, vcc, v5, v2, vcc
	v_mov_b32_e32 v9, s2
	global_store_dwordx2 v[6:7], v[11:12], off
	v_mov_b32_e32 v10, s3
	s_waitcnt vmcnt(0)
	global_atomic_cmpswap_x2 v[4:5], v8, v[9:12], s[6:7] offset:24 glc
	s_mov_b64 s[8:9], 0
	s_waitcnt vmcnt(0)
	v_cmp_ne_u64_e32 vcc, v[4:5], v[11:12]
	s_and_b64 exec, exec, vcc
	s_cbranch_execz .LBB3_581
.LBB3_580:                              ; =>This Inner Loop Header: Depth=1
	s_sleep 1
	global_store_dwordx2 v[6:7], v[4:5], off
	v_mov_b32_e32 v2, s2
	v_mov_b32_e32 v3, s3
	s_waitcnt vmcnt(0)
	global_atomic_cmpswap_x2 v[2:3], v8, v[2:5], s[6:7] offset:24 glc
	s_waitcnt vmcnt(0)
	v_cmp_eq_u64_e32 vcc, v[2:3], v[4:5]
	v_mov_b32_e32 v5, v3
	s_or_b64 s[8:9], vcc, s[8:9]
	v_mov_b32_e32 v4, v2
	s_andn2_b64 exec, exec, s[8:9]
	s_cbranch_execnz .LBB3_580
.LBB3_581:
	s_or_b64 exec, exec, s[10:11]
	v_readfirstlane_b32 s2, v33
	v_mov_b32_e32 v8, 0
	v_mov_b32_e32 v9, 0
	v_cmp_eq_u32_e64 s[2:3], s2, v33
	s_and_saveexec_b64 s[8:9], s[2:3]
	s_cbranch_execz .LBB3_587
; %bb.582:
	v_mov_b32_e32 v2, 0
	global_load_dwordx2 v[5:6], v2, s[6:7] offset:24 glc
	s_waitcnt vmcnt(0)
	buffer_wbinvl1_vol
	global_load_dwordx2 v[3:4], v2, s[6:7] offset:40
	global_load_dwordx2 v[7:8], v2, s[6:7]
	s_waitcnt vmcnt(1)
	v_and_b32_e32 v3, v3, v5
	v_and_b32_e32 v4, v4, v6
	v_mul_lo_u32 v4, v4, 24
	v_mul_hi_u32 v9, v3, 24
	v_mul_lo_u32 v3, v3, 24
	v_add_u32_e32 v4, v9, v4
	s_waitcnt vmcnt(0)
	v_add_co_u32_e32 v3, vcc, v7, v3
	v_addc_co_u32_e32 v4, vcc, v8, v4, vcc
	global_load_dwordx2 v[3:4], v[3:4], off glc
	s_waitcnt vmcnt(0)
	global_atomic_cmpswap_x2 v[8:9], v2, v[3:6], s[6:7] offset:24 glc
	s_waitcnt vmcnt(0)
	buffer_wbinvl1_vol
	v_cmp_ne_u64_e32 vcc, v[8:9], v[5:6]
	s_and_saveexec_b64 s[10:11], vcc
	s_cbranch_execz .LBB3_586
; %bb.583:
	s_mov_b64 s[12:13], 0
.LBB3_584:                              ; =>This Inner Loop Header: Depth=1
	s_sleep 1
	global_load_dwordx2 v[3:4], v2, s[6:7] offset:40
	global_load_dwordx2 v[10:11], v2, s[6:7]
	v_mov_b32_e32 v5, v8
	v_mov_b32_e32 v6, v9
	s_waitcnt vmcnt(1)
	v_and_b32_e32 v3, v3, v5
	s_waitcnt vmcnt(0)
	v_mad_u64_u32 v[7:8], s[14:15], v3, 24, v[10:11]
	v_and_b32_e32 v4, v4, v6
	v_mov_b32_e32 v3, v8
	v_mad_u64_u32 v[3:4], s[14:15], v4, 24, v[3:4]
	v_mov_b32_e32 v8, v3
	global_load_dwordx2 v[3:4], v[7:8], off glc
	s_waitcnt vmcnt(0)
	global_atomic_cmpswap_x2 v[8:9], v2, v[3:6], s[6:7] offset:24 glc
	s_waitcnt vmcnt(0)
	buffer_wbinvl1_vol
	v_cmp_eq_u64_e32 vcc, v[8:9], v[5:6]
	s_or_b64 s[12:13], vcc, s[12:13]
	s_andn2_b64 exec, exec, s[12:13]
	s_cbranch_execnz .LBB3_584
; %bb.585:
	s_or_b64 exec, exec, s[12:13]
.LBB3_586:
	s_or_b64 exec, exec, s[10:11]
.LBB3_587:
	s_or_b64 exec, exec, s[8:9]
	v_mov_b32_e32 v3, 0
	global_load_dwordx2 v[10:11], v3, s[6:7] offset:40
	global_load_dwordx4 v[4:7], v3, s[6:7]
	v_readfirstlane_b32 s9, v9
	v_readfirstlane_b32 s8, v8
	s_mov_b64 s[10:11], exec
	s_waitcnt vmcnt(1)
	v_readfirstlane_b32 s12, v10
	v_readfirstlane_b32 s13, v11
	s_and_b64 s[12:13], s[12:13], s[8:9]
	s_mul_i32 s14, s13, 24
	s_mul_hi_u32 s15, s12, 24
	s_mul_i32 s16, s12, 24
	s_add_i32 s14, s15, s14
	v_mov_b32_e32 v2, s14
	s_waitcnt vmcnt(0)
	v_add_co_u32_e32 v8, vcc, s16, v4
	v_addc_co_u32_e32 v9, vcc, v5, v2, vcc
	s_and_saveexec_b64 s[14:15], s[2:3]
	s_cbranch_execz .LBB3_589
; %bb.588:
	v_mov_b32_e32 v10, s10
	v_mov_b32_e32 v11, s11
	;; [unrolled: 1-line block ×4, first 2 shown]
	global_store_dwordx4 v[8:9], v[10:13], off offset:8
.LBB3_589:
	s_or_b64 exec, exec, s[14:15]
	s_lshl_b64 s[10:11], s[12:13], 12
	v_mov_b32_e32 v2, s11
	v_add_co_u32_e32 v6, vcc, s10, v6
	v_addc_co_u32_e32 v7, vcc, v7, v2, vcc
	s_mov_b32 s12, 0
	v_cndmask_b32_e64 v2, -1, v31, s[0:1]
	s_movk_i32 s0, 0xff1f
	v_add_co_u32_e32 v10, vcc, v6, v32
	s_mov_b32 s13, s12
	s_mov_b32 s14, s12
	;; [unrolled: 1-line block ×3, first 2 shown]
	v_mov_b32_e32 v12, s12
	v_and_or_b32 v0, v0, s0, 32
	v_addc_co_u32_e32 v11, vcc, 0, v7, vcc
	v_readfirstlane_b32 s0, v6
	v_readfirstlane_b32 s1, v7
	v_mov_b32_e32 v13, s13
	v_mov_b32_e32 v14, s14
	;; [unrolled: 1-line block ×3, first 2 shown]
	s_nop 1
	global_store_dwordx4 v32, v[0:3], s[0:1]
	global_store_dwordx4 v32, v[12:15], s[0:1] offset:16
	global_store_dwordx4 v32, v[12:15], s[0:1] offset:32
	;; [unrolled: 1-line block ×3, first 2 shown]
	s_and_saveexec_b64 s[0:1], s[2:3]
	s_cbranch_execz .LBB3_597
; %bb.590:
	v_mov_b32_e32 v7, 0
	global_load_dwordx2 v[14:15], v7, s[6:7] offset:32 glc
	global_load_dwordx2 v[0:1], v7, s[6:7] offset:40
	v_mov_b32_e32 v12, s8
	v_mov_b32_e32 v13, s9
	s_waitcnt vmcnt(0)
	v_readfirstlane_b32 s10, v0
	v_readfirstlane_b32 s11, v1
	s_and_b64 s[10:11], s[10:11], s[8:9]
	s_mul_i32 s11, s11, 24
	s_mul_hi_u32 s12, s10, 24
	s_mul_i32 s10, s10, 24
	s_add_i32 s11, s12, s11
	v_mov_b32_e32 v1, s11
	v_add_co_u32_e32 v0, vcc, s10, v4
	v_addc_co_u32_e32 v1, vcc, v5, v1, vcc
	global_store_dwordx2 v[0:1], v[14:15], off
	s_waitcnt vmcnt(0)
	global_atomic_cmpswap_x2 v[5:6], v7, v[12:15], s[6:7] offset:32 glc
	s_waitcnt vmcnt(0)
	v_cmp_ne_u64_e32 vcc, v[5:6], v[14:15]
	s_and_saveexec_b64 s[10:11], vcc
	s_cbranch_execz .LBB3_593
; %bb.591:
	s_mov_b64 s[12:13], 0
.LBB3_592:                              ; =>This Inner Loop Header: Depth=1
	s_sleep 1
	global_store_dwordx2 v[0:1], v[5:6], off
	v_mov_b32_e32 v3, s8
	v_mov_b32_e32 v4, s9
	s_waitcnt vmcnt(0)
	global_atomic_cmpswap_x2 v[3:4], v7, v[3:6], s[6:7] offset:32 glc
	s_waitcnt vmcnt(0)
	v_cmp_eq_u64_e32 vcc, v[3:4], v[5:6]
	v_mov_b32_e32 v6, v4
	s_or_b64 s[12:13], vcc, s[12:13]
	v_mov_b32_e32 v5, v3
	s_andn2_b64 exec, exec, s[12:13]
	s_cbranch_execnz .LBB3_592
.LBB3_593:
	s_or_b64 exec, exec, s[10:11]
	v_mov_b32_e32 v4, 0
	global_load_dwordx2 v[0:1], v4, s[6:7] offset:16
	s_mov_b64 s[10:11], exec
	v_mbcnt_lo_u32_b32 v3, s10, 0
	v_mbcnt_hi_u32_b32 v3, s11, v3
	v_cmp_eq_u32_e32 vcc, 0, v3
	s_and_saveexec_b64 s[12:13], vcc
	s_cbranch_execz .LBB3_595
; %bb.594:
	s_bcnt1_i32_b64 s10, s[10:11]
	v_mov_b32_e32 v3, s10
	s_waitcnt vmcnt(0)
	global_atomic_add_x2 v[0:1], v[3:4], off offset:8
.LBB3_595:
	s_or_b64 exec, exec, s[12:13]
	s_waitcnt vmcnt(0)
	global_load_dwordx2 v[3:4], v[0:1], off offset:16
	s_waitcnt vmcnt(0)
	v_cmp_eq_u64_e32 vcc, 0, v[3:4]
	s_cbranch_vccnz .LBB3_597
; %bb.596:
	global_load_dword v0, v[0:1], off offset:24
	v_mov_b32_e32 v1, 0
	s_waitcnt vmcnt(0)
	v_readfirstlane_b32 s10, v0
	s_and_b32 m0, s10, 0xffffff
	global_store_dwordx2 v[3:4], v[0:1], off
	s_sendmsg sendmsg(MSG_INTERRUPT)
.LBB3_597:
	s_or_b64 exec, exec, s[0:1]
	s_branch .LBB3_601
.LBB3_598:                              ;   in Loop: Header=BB3_601 Depth=1
	s_or_b64 exec, exec, s[0:1]
	v_readfirstlane_b32 s0, v0
	s_cmp_eq_u32 s0, 0
	s_cbranch_scc1 .LBB3_600
; %bb.599:                              ;   in Loop: Header=BB3_601 Depth=1
	s_sleep 1
	s_cbranch_execnz .LBB3_601
	s_branch .LBB3_603
.LBB3_600:
	s_branch .LBB3_603
.LBB3_601:                              ; =>This Inner Loop Header: Depth=1
	v_mov_b32_e32 v0, 1
	s_and_saveexec_b64 s[0:1], s[2:3]
	s_cbranch_execz .LBB3_598
; %bb.602:                              ;   in Loop: Header=BB3_601 Depth=1
	global_load_dword v0, v[8:9], off offset:20 glc
	s_waitcnt vmcnt(0)
	buffer_wbinvl1_vol
	v_and_b32_e32 v0, 1, v0
	s_branch .LBB3_598
.LBB3_603:
	global_load_dwordx2 v[3:4], v[10:11], off
	s_and_saveexec_b64 s[0:1], s[2:3]
	s_cbranch_execz .LBB3_606
; %bb.604:
	v_mov_b32_e32 v9, 0
	global_load_dwordx2 v[0:1], v9, s[6:7] offset:40
	global_load_dwordx2 v[12:13], v9, s[6:7] offset:24 glc
	global_load_dwordx2 v[5:6], v9, s[6:7]
	s_waitcnt vmcnt(2)
	v_readfirstlane_b32 s10, v0
	v_readfirstlane_b32 s11, v1
	s_add_u32 s12, s10, 1
	s_addc_u32 s13, s11, 0
	s_add_u32 s2, s12, s8
	s_addc_u32 s3, s13, s9
	s_cmp_eq_u64 s[2:3], 0
	s_cselect_b32 s3, s13, s3
	s_cselect_b32 s2, s12, s2
	s_and_b64 s[8:9], s[2:3], s[10:11]
	s_mul_i32 s9, s9, 24
	s_mul_hi_u32 s10, s8, 24
	s_mul_i32 s8, s8, 24
	s_add_i32 s9, s10, s9
	v_mov_b32_e32 v1, s9
	s_waitcnt vmcnt(0)
	v_add_co_u32_e32 v0, vcc, s8, v5
	v_addc_co_u32_e32 v1, vcc, v6, v1, vcc
	v_mov_b32_e32 v10, s2
	global_store_dwordx2 v[0:1], v[12:13], off
	v_mov_b32_e32 v11, s3
	s_waitcnt vmcnt(0)
	global_atomic_cmpswap_x2 v[7:8], v9, v[10:13], s[6:7] offset:24 glc
	s_mov_b64 s[8:9], 0
	s_waitcnt vmcnt(0)
	v_cmp_ne_u64_e32 vcc, v[7:8], v[12:13]
	s_and_b64 exec, exec, vcc
	s_cbranch_execz .LBB3_606
.LBB3_605:                              ; =>This Inner Loop Header: Depth=1
	s_sleep 1
	global_store_dwordx2 v[0:1], v[7:8], off
	v_mov_b32_e32 v5, s2
	v_mov_b32_e32 v6, s3
	s_waitcnt vmcnt(0)
	global_atomic_cmpswap_x2 v[5:6], v9, v[5:8], s[6:7] offset:24 glc
	s_waitcnt vmcnt(0)
	v_cmp_eq_u64_e32 vcc, v[5:6], v[7:8]
	v_mov_b32_e32 v8, v6
	s_or_b64 s[8:9], vcc, s[8:9]
	v_mov_b32_e32 v7, v5
	s_andn2_b64 exec, exec, s[8:9]
	s_cbranch_execnz .LBB3_605
.LBB3_606:
	s_or_b64 exec, exec, s[0:1]
	v_readfirstlane_b32 s0, v33
	v_mov_b32_e32 v0, 0
	v_mov_b32_e32 v1, 0
	v_cmp_eq_u32_e64 s[0:1], s0, v33
	s_and_saveexec_b64 s[2:3], s[0:1]
	s_cbranch_execz .LBB3_612
; %bb.607:
	v_mov_b32_e32 v5, 0
	global_load_dwordx2 v[8:9], v5, s[6:7] offset:24 glc
	s_waitcnt vmcnt(0)
	buffer_wbinvl1_vol
	global_load_dwordx2 v[0:1], v5, s[6:7] offset:40
	global_load_dwordx2 v[6:7], v5, s[6:7]
	s_waitcnt vmcnt(1)
	v_and_b32_e32 v0, v0, v8
	v_and_b32_e32 v1, v1, v9
	v_mul_lo_u32 v1, v1, 24
	v_mul_hi_u32 v10, v0, 24
	v_mul_lo_u32 v0, v0, 24
	v_add_u32_e32 v1, v10, v1
	s_waitcnt vmcnt(0)
	v_add_co_u32_e32 v0, vcc, v6, v0
	v_addc_co_u32_e32 v1, vcc, v7, v1, vcc
	global_load_dwordx2 v[6:7], v[0:1], off glc
	s_waitcnt vmcnt(0)
	global_atomic_cmpswap_x2 v[0:1], v5, v[6:9], s[6:7] offset:24 glc
	s_waitcnt vmcnt(0)
	buffer_wbinvl1_vol
	v_cmp_ne_u64_e32 vcc, v[0:1], v[8:9]
	s_and_saveexec_b64 s[8:9], vcc
	s_cbranch_execz .LBB3_611
; %bb.608:
	s_mov_b64 s[10:11], 0
.LBB3_609:                              ; =>This Inner Loop Header: Depth=1
	s_sleep 1
	global_load_dwordx2 v[6:7], v5, s[6:7] offset:40
	global_load_dwordx2 v[10:11], v5, s[6:7]
	v_mov_b32_e32 v9, v1
	v_mov_b32_e32 v8, v0
	s_waitcnt vmcnt(1)
	v_and_b32_e32 v0, v6, v8
	s_waitcnt vmcnt(0)
	v_mad_u64_u32 v[0:1], s[12:13], v0, 24, v[10:11]
	v_and_b32_e32 v6, v7, v9
	v_mad_u64_u32 v[6:7], s[12:13], v6, 24, v[1:2]
	v_mov_b32_e32 v1, v6
	global_load_dwordx2 v[6:7], v[0:1], off glc
	s_waitcnt vmcnt(0)
	global_atomic_cmpswap_x2 v[0:1], v5, v[6:9], s[6:7] offset:24 glc
	s_waitcnt vmcnt(0)
	buffer_wbinvl1_vol
	v_cmp_eq_u64_e32 vcc, v[0:1], v[8:9]
	s_or_b64 s[10:11], vcc, s[10:11]
	s_andn2_b64 exec, exec, s[10:11]
	s_cbranch_execnz .LBB3_609
; %bb.610:
	s_or_b64 exec, exec, s[10:11]
.LBB3_611:
	s_or_b64 exec, exec, s[8:9]
.LBB3_612:
	s_or_b64 exec, exec, s[2:3]
	v_mov_b32_e32 v6, 0
	global_load_dwordx2 v[11:12], v6, s[6:7] offset:40
	global_load_dwordx4 v[7:10], v6, s[6:7]
	v_readfirstlane_b32 s3, v1
	v_readfirstlane_b32 s2, v0
	s_mov_b64 s[8:9], exec
	s_waitcnt vmcnt(1)
	v_readfirstlane_b32 s10, v11
	v_readfirstlane_b32 s11, v12
	s_and_b64 s[10:11], s[10:11], s[2:3]
	s_mul_i32 s12, s11, 24
	s_mul_hi_u32 s13, s10, 24
	s_mul_i32 s14, s10, 24
	s_add_i32 s12, s13, s12
	v_mov_b32_e32 v1, s12
	s_waitcnt vmcnt(0)
	v_add_co_u32_e32 v0, vcc, s14, v7
	v_addc_co_u32_e32 v1, vcc, v8, v1, vcc
	s_and_saveexec_b64 s[12:13], s[0:1]
	s_cbranch_execz .LBB3_614
; %bb.613:
	v_mov_b32_e32 v12, s9
	v_mov_b32_e32 v11, s8
	;; [unrolled: 1-line block ×4, first 2 shown]
	global_store_dwordx4 v[0:1], v[11:14], off offset:8
.LBB3_614:
	s_or_b64 exec, exec, s[12:13]
	s_lshl_b64 s[8:9], s[10:11], 12
	v_mov_b32_e32 v5, s9
	v_add_co_u32_e32 v9, vcc, s8, v9
	s_movk_i32 s8, 0xff1f
	v_addc_co_u32_e32 v12, vcc, v10, v5, vcc
	v_and_or_b32 v3, v3, s8, 32
	s_mov_b32 s8, 0
	v_add_co_u32_e32 v10, vcc, v9, v32
	s_mov_b32 s11, s8
	v_addc_co_u32_e32 v11, vcc, 0, v12, vcc
	v_readfirstlane_b32 s13, v12
	s_mov_b32 s9, s8
	s_mov_b32 s10, s8
	v_mov_b32_e32 v15, s11
	v_lshrrev_b32_e32 v5, 2, v26
	v_readfirstlane_b32 s12, v9
	v_mov_b32_e32 v14, s10
	v_mov_b32_e32 v13, s9
	v_mov_b32_e32 v12, s8
	s_nop 1
	global_store_dwordx4 v32, v[3:6], s[12:13]
	global_store_dwordx4 v32, v[12:15], s[12:13] offset:16
	global_store_dwordx4 v32, v[12:15], s[12:13] offset:32
	;; [unrolled: 1-line block ×3, first 2 shown]
	s_and_saveexec_b64 s[8:9], s[0:1]
	s_cbranch_execz .LBB3_622
; %bb.615:
	v_mov_b32_e32 v12, 0
	global_load_dwordx2 v[15:16], v12, s[6:7] offset:32 glc
	global_load_dwordx2 v[3:4], v12, s[6:7] offset:40
	v_mov_b32_e32 v13, s2
	v_mov_b32_e32 v14, s3
	s_waitcnt vmcnt(0)
	v_readfirstlane_b32 s10, v3
	v_readfirstlane_b32 s11, v4
	s_and_b64 s[10:11], s[10:11], s[2:3]
	s_mul_i32 s11, s11, 24
	s_mul_hi_u32 s12, s10, 24
	s_mul_i32 s10, s10, 24
	s_add_i32 s11, s12, s11
	v_mov_b32_e32 v4, s11
	v_add_co_u32_e32 v3, vcc, s10, v7
	v_addc_co_u32_e32 v4, vcc, v8, v4, vcc
	global_store_dwordx2 v[3:4], v[15:16], off
	s_waitcnt vmcnt(0)
	global_atomic_cmpswap_x2 v[8:9], v12, v[13:16], s[6:7] offset:32 glc
	s_waitcnt vmcnt(0)
	v_cmp_ne_u64_e32 vcc, v[8:9], v[15:16]
	s_and_saveexec_b64 s[10:11], vcc
	s_cbranch_execz .LBB3_618
; %bb.616:
	s_mov_b64 s[12:13], 0
.LBB3_617:                              ; =>This Inner Loop Header: Depth=1
	s_sleep 1
	global_store_dwordx2 v[3:4], v[8:9], off
	v_mov_b32_e32 v6, s2
	v_mov_b32_e32 v7, s3
	s_waitcnt vmcnt(0)
	global_atomic_cmpswap_x2 v[6:7], v12, v[6:9], s[6:7] offset:32 glc
	s_waitcnt vmcnt(0)
	v_cmp_eq_u64_e32 vcc, v[6:7], v[8:9]
	v_mov_b32_e32 v9, v7
	s_or_b64 s[12:13], vcc, s[12:13]
	v_mov_b32_e32 v8, v6
	s_andn2_b64 exec, exec, s[12:13]
	s_cbranch_execnz .LBB3_617
.LBB3_618:
	s_or_b64 exec, exec, s[10:11]
	v_mov_b32_e32 v7, 0
	global_load_dwordx2 v[3:4], v7, s[6:7] offset:16
	s_mov_b64 s[10:11], exec
	v_mbcnt_lo_u32_b32 v6, s10, 0
	v_mbcnt_hi_u32_b32 v6, s11, v6
	v_cmp_eq_u32_e32 vcc, 0, v6
	s_and_saveexec_b64 s[12:13], vcc
	s_cbranch_execz .LBB3_620
; %bb.619:
	s_bcnt1_i32_b64 s10, s[10:11]
	v_mov_b32_e32 v6, s10
	s_waitcnt vmcnt(0)
	global_atomic_add_x2 v[3:4], v[6:7], off offset:8
.LBB3_620:
	s_or_b64 exec, exec, s[12:13]
	s_waitcnt vmcnt(0)
	global_load_dwordx2 v[6:7], v[3:4], off offset:16
	s_waitcnt vmcnt(0)
	v_cmp_eq_u64_e32 vcc, 0, v[6:7]
	s_cbranch_vccnz .LBB3_622
; %bb.621:
	global_load_dword v3, v[3:4], off offset:24
	v_mov_b32_e32 v4, 0
	s_waitcnt vmcnt(0)
	v_readfirstlane_b32 s10, v3
	s_and_b32 m0, s10, 0xffffff
	global_store_dwordx2 v[6:7], v[3:4], off
	s_sendmsg sendmsg(MSG_INTERRUPT)
.LBB3_622:
	s_or_b64 exec, exec, s[8:9]
	s_branch .LBB3_626
.LBB3_623:                              ;   in Loop: Header=BB3_626 Depth=1
	s_or_b64 exec, exec, s[8:9]
	v_readfirstlane_b32 s8, v3
	s_cmp_eq_u32 s8, 0
	s_cbranch_scc1 .LBB3_625
; %bb.624:                              ;   in Loop: Header=BB3_626 Depth=1
	s_sleep 1
	s_cbranch_execnz .LBB3_626
	s_branch .LBB3_628
.LBB3_625:
	s_branch .LBB3_628
.LBB3_626:                              ; =>This Inner Loop Header: Depth=1
	v_mov_b32_e32 v3, 1
	s_and_saveexec_b64 s[8:9], s[0:1]
	s_cbranch_execz .LBB3_623
; %bb.627:                              ;   in Loop: Header=BB3_626 Depth=1
	global_load_dword v3, v[0:1], off offset:20 glc
	s_waitcnt vmcnt(0)
	buffer_wbinvl1_vol
	v_and_b32_e32 v3, 1, v3
	s_branch .LBB3_623
.LBB3_628:
	global_load_dwordx2 v[6:7], v[10:11], off
	s_and_saveexec_b64 s[8:9], s[0:1]
	s_cbranch_execz .LBB3_631
; %bb.629:
	v_mov_b32_e32 v3, 0
	global_load_dwordx2 v[0:1], v3, s[6:7] offset:40
	global_load_dwordx2 v[12:13], v3, s[6:7] offset:24 glc
	global_load_dwordx2 v[8:9], v3, s[6:7]
	s_waitcnt vmcnt(2)
	v_readfirstlane_b32 s10, v0
	v_readfirstlane_b32 s11, v1
	s_add_u32 s12, s10, 1
	s_addc_u32 s13, s11, 0
	s_add_u32 s0, s12, s2
	s_addc_u32 s1, s13, s3
	s_cmp_eq_u64 s[0:1], 0
	s_cselect_b32 s1, s13, s1
	s_cselect_b32 s0, s12, s0
	s_and_b64 s[2:3], s[0:1], s[10:11]
	s_mul_i32 s3, s3, 24
	s_mul_hi_u32 s10, s2, 24
	s_mul_i32 s2, s2, 24
	s_add_i32 s3, s10, s3
	v_mov_b32_e32 v1, s3
	s_waitcnt vmcnt(0)
	v_add_co_u32_e32 v0, vcc, s2, v8
	v_addc_co_u32_e32 v1, vcc, v9, v1, vcc
	v_mov_b32_e32 v10, s0
	global_store_dwordx2 v[0:1], v[12:13], off
	v_mov_b32_e32 v11, s1
	s_waitcnt vmcnt(0)
	global_atomic_cmpswap_x2 v[10:11], v3, v[10:13], s[6:7] offset:24 glc
	s_mov_b64 s[2:3], 0
	s_waitcnt vmcnt(0)
	v_cmp_ne_u64_e32 vcc, v[10:11], v[12:13]
	s_and_b64 exec, exec, vcc
	s_cbranch_execz .LBB3_631
.LBB3_630:                              ; =>This Inner Loop Header: Depth=1
	s_sleep 1
	global_store_dwordx2 v[0:1], v[10:11], off
	v_mov_b32_e32 v8, s0
	v_mov_b32_e32 v9, s1
	s_waitcnt vmcnt(0)
	global_atomic_cmpswap_x2 v[8:9], v3, v[8:11], s[6:7] offset:24 glc
	s_waitcnt vmcnt(0)
	v_cmp_eq_u64_e32 vcc, v[8:9], v[10:11]
	v_mov_b32_e32 v11, v9
	s_or_b64 s[2:3], vcc, s[2:3]
	v_mov_b32_e32 v10, v8
	s_andn2_b64 exec, exec, s[2:3]
	s_cbranch_execnz .LBB3_630
.LBB3_631:
	s_or_b64 exec, exec, s[8:9]
	v_readfirstlane_b32 s0, v33
	v_mov_b32_e32 v0, 0
	v_mov_b32_e32 v1, 0
	v_cmp_eq_u32_e64 s[0:1], s0, v33
	s_and_saveexec_b64 s[2:3], s[0:1]
	s_cbranch_execz .LBB3_637
; %bb.632:
	v_mov_b32_e32 v3, 0
	global_load_dwordx2 v[10:11], v3, s[6:7] offset:24 glc
	s_waitcnt vmcnt(0)
	buffer_wbinvl1_vol
	global_load_dwordx2 v[0:1], v3, s[6:7] offset:40
	global_load_dwordx2 v[8:9], v3, s[6:7]
	s_waitcnt vmcnt(1)
	v_and_b32_e32 v0, v0, v10
	v_and_b32_e32 v1, v1, v11
	v_mul_lo_u32 v1, v1, 24
	v_mul_hi_u32 v4, v0, 24
	v_mul_lo_u32 v0, v0, 24
	v_add_u32_e32 v1, v4, v1
	s_waitcnt vmcnt(0)
	v_add_co_u32_e32 v0, vcc, v8, v0
	v_addc_co_u32_e32 v1, vcc, v9, v1, vcc
	global_load_dwordx2 v[8:9], v[0:1], off glc
	s_waitcnt vmcnt(0)
	global_atomic_cmpswap_x2 v[0:1], v3, v[8:11], s[6:7] offset:24 glc
	s_waitcnt vmcnt(0)
	buffer_wbinvl1_vol
	v_cmp_ne_u64_e32 vcc, v[0:1], v[10:11]
	s_and_saveexec_b64 s[8:9], vcc
	s_cbranch_execz .LBB3_636
; %bb.633:
	s_mov_b64 s[10:11], 0
.LBB3_634:                              ; =>This Inner Loop Header: Depth=1
	s_sleep 1
	global_load_dwordx2 v[8:9], v3, s[6:7] offset:40
	global_load_dwordx2 v[12:13], v3, s[6:7]
	v_mov_b32_e32 v11, v1
	v_mov_b32_e32 v10, v0
	s_waitcnt vmcnt(1)
	v_and_b32_e32 v0, v8, v10
	s_waitcnt vmcnt(0)
	v_mad_u64_u32 v[0:1], s[12:13], v0, 24, v[12:13]
	v_and_b32_e32 v4, v9, v11
	v_mad_u64_u32 v[8:9], s[12:13], v4, 24, v[1:2]
	v_mov_b32_e32 v1, v8
	global_load_dwordx2 v[8:9], v[0:1], off glc
	s_waitcnt vmcnt(0)
	global_atomic_cmpswap_x2 v[0:1], v3, v[8:11], s[6:7] offset:24 glc
	s_waitcnt vmcnt(0)
	buffer_wbinvl1_vol
	v_cmp_eq_u64_e32 vcc, v[0:1], v[10:11]
	s_or_b64 s[10:11], vcc, s[10:11]
	s_andn2_b64 exec, exec, s[10:11]
	s_cbranch_execnz .LBB3_634
; %bb.635:
	s_or_b64 exec, exec, s[10:11]
.LBB3_636:
	s_or_b64 exec, exec, s[8:9]
.LBB3_637:
	s_or_b64 exec, exec, s[2:3]
	v_mov_b32_e32 v9, 0
	global_load_dwordx2 v[3:4], v9, s[6:7] offset:40
	global_load_dwordx4 v[10:13], v9, s[6:7]
	v_readfirstlane_b32 s3, v1
	v_readfirstlane_b32 s2, v0
	s_mov_b64 s[8:9], exec
	s_waitcnt vmcnt(1)
	v_readfirstlane_b32 s10, v3
	v_readfirstlane_b32 s11, v4
	s_and_b64 s[10:11], s[10:11], s[2:3]
	s_mul_i32 s12, s11, 24
	s_mul_hi_u32 s13, s10, 24
	s_mul_i32 s14, s10, 24
	s_add_i32 s12, s13, s12
	v_mov_b32_e32 v1, s12
	s_waitcnt vmcnt(0)
	v_add_co_u32_e32 v0, vcc, s14, v10
	v_addc_co_u32_e32 v1, vcc, v11, v1, vcc
	s_and_saveexec_b64 s[12:13], s[0:1]
	s_cbranch_execz .LBB3_639
; %bb.638:
	v_mov_b32_e32 v15, s9
	v_mov_b32_e32 v14, s8
	;; [unrolled: 1-line block ×4, first 2 shown]
	global_store_dwordx4 v[0:1], v[14:17], off offset:8
.LBB3_639:
	s_or_b64 exec, exec, s[12:13]
	s_lshl_b64 s[8:9], s[10:11], 12
	v_mov_b32_e32 v3, s9
	v_add_co_u32_e32 v4, vcc, s8, v12
	s_add_i32 s26, s26, 3
	v_addc_co_u32_e32 v3, vcc, v13, v3, vcc
	s_lshr_b32 s9, s26, 2
	s_movk_i32 s10, 0xff1d
	s_mov_b32 s8, 0
	v_and_or_b32 v6, v6, s10, 34
	v_mov_b32_e32 v8, s9
	v_readfirstlane_b32 s12, v4
	v_readfirstlane_b32 s13, v3
	s_mov_b32 s9, s8
	s_mov_b32 s10, s8
	;; [unrolled: 1-line block ×3, first 2 shown]
	s_nop 1
	global_store_dwordx4 v32, v[6:9], s[12:13]
	s_nop 0
	v_mov_b32_e32 v6, s8
	v_mov_b32_e32 v7, s9
	v_mov_b32_e32 v8, s10
	v_mov_b32_e32 v9, s11
	global_store_dwordx4 v32, v[6:9], s[12:13] offset:16
	global_store_dwordx4 v32, v[6:9], s[12:13] offset:32
	global_store_dwordx4 v32, v[6:9], s[12:13] offset:48
	s_and_saveexec_b64 s[8:9], s[0:1]
	s_cbranch_execz .LBB3_647
; %bb.640:
	v_mov_b32_e32 v12, 0
	global_load_dwordx2 v[15:16], v12, s[6:7] offset:32 glc
	global_load_dwordx2 v[3:4], v12, s[6:7] offset:40
	v_mov_b32_e32 v13, s2
	v_mov_b32_e32 v14, s3
	s_waitcnt vmcnt(0)
	v_readfirstlane_b32 s10, v3
	v_readfirstlane_b32 s11, v4
	s_and_b64 s[10:11], s[10:11], s[2:3]
	s_mul_i32 s11, s11, 24
	s_mul_hi_u32 s12, s10, 24
	s_mul_i32 s10, s10, 24
	s_add_i32 s11, s12, s11
	v_mov_b32_e32 v4, s11
	v_add_co_u32_e32 v3, vcc, s10, v10
	v_addc_co_u32_e32 v4, vcc, v11, v4, vcc
	global_store_dwordx2 v[3:4], v[15:16], off
	s_waitcnt vmcnt(0)
	global_atomic_cmpswap_x2 v[8:9], v12, v[13:16], s[6:7] offset:32 glc
	s_waitcnt vmcnt(0)
	v_cmp_ne_u64_e32 vcc, v[8:9], v[15:16]
	s_and_saveexec_b64 s[10:11], vcc
	s_cbranch_execz .LBB3_643
; %bb.641:
	s_mov_b64 s[12:13], 0
.LBB3_642:                              ; =>This Inner Loop Header: Depth=1
	s_sleep 1
	global_store_dwordx2 v[3:4], v[8:9], off
	v_mov_b32_e32 v6, s2
	v_mov_b32_e32 v7, s3
	s_waitcnt vmcnt(0)
	global_atomic_cmpswap_x2 v[6:7], v12, v[6:9], s[6:7] offset:32 glc
	s_waitcnt vmcnt(0)
	v_cmp_eq_u64_e32 vcc, v[6:7], v[8:9]
	v_mov_b32_e32 v9, v7
	s_or_b64 s[12:13], vcc, s[12:13]
	v_mov_b32_e32 v8, v6
	s_andn2_b64 exec, exec, s[12:13]
	s_cbranch_execnz .LBB3_642
.LBB3_643:
	s_or_b64 exec, exec, s[10:11]
	v_mov_b32_e32 v7, 0
	global_load_dwordx2 v[3:4], v7, s[6:7] offset:16
	s_mov_b64 s[10:11], exec
	v_mbcnt_lo_u32_b32 v6, s10, 0
	v_mbcnt_hi_u32_b32 v6, s11, v6
	v_cmp_eq_u32_e32 vcc, 0, v6
	s_and_saveexec_b64 s[12:13], vcc
	s_cbranch_execz .LBB3_645
; %bb.644:
	s_bcnt1_i32_b64 s10, s[10:11]
	v_mov_b32_e32 v6, s10
	s_waitcnt vmcnt(0)
	global_atomic_add_x2 v[3:4], v[6:7], off offset:8
.LBB3_645:
	s_or_b64 exec, exec, s[12:13]
	s_waitcnt vmcnt(0)
	global_load_dwordx2 v[6:7], v[3:4], off offset:16
	s_waitcnt vmcnt(0)
	v_cmp_eq_u64_e32 vcc, 0, v[6:7]
	s_cbranch_vccnz .LBB3_647
; %bb.646:
	global_load_dword v3, v[3:4], off offset:24
	v_mov_b32_e32 v4, 0
	s_waitcnt vmcnt(0)
	v_readfirstlane_b32 s10, v3
	s_and_b32 m0, s10, 0xffffff
	global_store_dwordx2 v[6:7], v[3:4], off
	s_sendmsg sendmsg(MSG_INTERRUPT)
.LBB3_647:
	s_or_b64 exec, exec, s[8:9]
	s_branch .LBB3_651
.LBB3_648:                              ;   in Loop: Header=BB3_651 Depth=1
	s_or_b64 exec, exec, s[8:9]
	v_readfirstlane_b32 s8, v3
	s_cmp_eq_u32 s8, 0
	s_cbranch_scc1 .LBB3_650
; %bb.649:                              ;   in Loop: Header=BB3_651 Depth=1
	s_sleep 1
	s_cbranch_execnz .LBB3_651
	s_branch .LBB3_653
.LBB3_650:
	s_branch .LBB3_653
.LBB3_651:                              ; =>This Inner Loop Header: Depth=1
	v_mov_b32_e32 v3, 1
	s_and_saveexec_b64 s[8:9], s[0:1]
	s_cbranch_execz .LBB3_648
; %bb.652:                              ;   in Loop: Header=BB3_651 Depth=1
	global_load_dword v3, v[0:1], off offset:20 glc
	s_waitcnt vmcnt(0)
	buffer_wbinvl1_vol
	v_and_b32_e32 v3, 1, v3
	s_branch .LBB3_648
.LBB3_653:
	s_and_saveexec_b64 s[8:9], s[0:1]
	s_cbranch_execz .LBB3_656
; %bb.654:
	v_mov_b32_e32 v3, 0
	global_load_dwordx2 v[0:1], v3, s[6:7] offset:40
	global_load_dwordx2 v[10:11], v3, s[6:7] offset:24 glc
	global_load_dwordx2 v[6:7], v3, s[6:7]
	s_waitcnt vmcnt(2)
	v_readfirstlane_b32 s10, v0
	v_readfirstlane_b32 s11, v1
	s_add_u32 s12, s10, 1
	s_addc_u32 s13, s11, 0
	s_add_u32 s0, s12, s2
	s_addc_u32 s1, s13, s3
	s_cmp_eq_u64 s[0:1], 0
	s_cselect_b32 s1, s13, s1
	s_cselect_b32 s0, s12, s0
	s_and_b64 s[2:3], s[0:1], s[10:11]
	s_mul_i32 s3, s3, 24
	s_mul_hi_u32 s10, s2, 24
	s_mul_i32 s2, s2, 24
	s_add_i32 s3, s10, s3
	v_mov_b32_e32 v1, s3
	s_waitcnt vmcnt(0)
	v_add_co_u32_e32 v0, vcc, s2, v6
	v_addc_co_u32_e32 v1, vcc, v7, v1, vcc
	v_mov_b32_e32 v8, s0
	global_store_dwordx2 v[0:1], v[10:11], off
	v_mov_b32_e32 v9, s1
	s_waitcnt vmcnt(0)
	global_atomic_cmpswap_x2 v[8:9], v3, v[8:11], s[6:7] offset:24 glc
	s_mov_b64 s[2:3], 0
	s_waitcnt vmcnt(0)
	v_cmp_ne_u64_e32 vcc, v[8:9], v[10:11]
	s_and_b64 exec, exec, vcc
	s_cbranch_execz .LBB3_656
.LBB3_655:                              ; =>This Inner Loop Header: Depth=1
	s_sleep 1
	global_store_dwordx2 v[0:1], v[8:9], off
	v_mov_b32_e32 v6, s0
	v_mov_b32_e32 v7, s1
	s_waitcnt vmcnt(0)
	global_atomic_cmpswap_x2 v[6:7], v3, v[6:9], s[6:7] offset:24 glc
	s_waitcnt vmcnt(0)
	v_cmp_eq_u64_e32 vcc, v[6:7], v[8:9]
	v_mov_b32_e32 v9, v7
	s_or_b64 s[2:3], vcc, s[2:3]
	v_mov_b32_e32 v8, v6
	s_andn2_b64 exec, exec, s[2:3]
	s_cbranch_execnz .LBB3_655
.LBB3_656:
	s_or_b64 exec, exec, s[8:9]
	s_load_dwordx2 s[0:1], s[4:5], 0x0
	v_lshlrev_b32_e32 v0, 2, v5
	s_waitcnt lgkmcnt(0)
	global_store_dword v0, v2, s[0:1]
	s_endpgm
	.section	.rodata,"a",@progbits
	.p2align	6, 0x0
	.amdhsa_kernel _Z32kernel_cg_group_partition_staticILj4EEvPibS0_
		.amdhsa_group_segment_fixed_size 0
		.amdhsa_private_segment_fixed_size 0
		.amdhsa_kernarg_size 280
		.amdhsa_user_sgpr_count 6
		.amdhsa_user_sgpr_private_segment_buffer 1
		.amdhsa_user_sgpr_dispatch_ptr 0
		.amdhsa_user_sgpr_queue_ptr 0
		.amdhsa_user_sgpr_kernarg_segment_ptr 1
		.amdhsa_user_sgpr_dispatch_id 0
		.amdhsa_user_sgpr_flat_scratch_init 0
		.amdhsa_user_sgpr_private_segment_size 0
		.amdhsa_uses_dynamic_stack 0
		.amdhsa_system_sgpr_private_segment_wavefront_offset 0
		.amdhsa_system_sgpr_workgroup_id_x 1
		.amdhsa_system_sgpr_workgroup_id_y 0
		.amdhsa_system_sgpr_workgroup_id_z 0
		.amdhsa_system_sgpr_workgroup_info 0
		.amdhsa_system_vgpr_workitem_id 2
		.amdhsa_next_free_vgpr 36
		.amdhsa_next_free_sgpr 30
		.amdhsa_reserve_vcc 1
		.amdhsa_reserve_flat_scratch 0
		.amdhsa_float_round_mode_32 0
		.amdhsa_float_round_mode_16_64 0
		.amdhsa_float_denorm_mode_32 3
		.amdhsa_float_denorm_mode_16_64 3
		.amdhsa_dx10_clamp 1
		.amdhsa_ieee_mode 1
		.amdhsa_fp16_overflow 0
		.amdhsa_exception_fp_ieee_invalid_op 0
		.amdhsa_exception_fp_denorm_src 0
		.amdhsa_exception_fp_ieee_div_zero 0
		.amdhsa_exception_fp_ieee_overflow 0
		.amdhsa_exception_fp_ieee_underflow 0
		.amdhsa_exception_fp_ieee_inexact 0
		.amdhsa_exception_int_div_zero 0
	.end_amdhsa_kernel
	.section	.text._Z32kernel_cg_group_partition_staticILj4EEvPibS0_,"axG",@progbits,_Z32kernel_cg_group_partition_staticILj4EEvPibS0_,comdat
.Lfunc_end3:
	.size	_Z32kernel_cg_group_partition_staticILj4EEvPibS0_, .Lfunc_end3-_Z32kernel_cg_group_partition_staticILj4EEvPibS0_
                                        ; -- End function
	.set _Z32kernel_cg_group_partition_staticILj4EEvPibS0_.num_vgpr, 36
	.set _Z32kernel_cg_group_partition_staticILj4EEvPibS0_.num_agpr, 0
	.set _Z32kernel_cg_group_partition_staticILj4EEvPibS0_.numbered_sgpr, 30
	.set _Z32kernel_cg_group_partition_staticILj4EEvPibS0_.num_named_barrier, 0
	.set _Z32kernel_cg_group_partition_staticILj4EEvPibS0_.private_seg_size, 0
	.set _Z32kernel_cg_group_partition_staticILj4EEvPibS0_.uses_vcc, 1
	.set _Z32kernel_cg_group_partition_staticILj4EEvPibS0_.uses_flat_scratch, 0
	.set _Z32kernel_cg_group_partition_staticILj4EEvPibS0_.has_dyn_sized_stack, 0
	.set _Z32kernel_cg_group_partition_staticILj4EEvPibS0_.has_recursion, 0
	.set _Z32kernel_cg_group_partition_staticILj4EEvPibS0_.has_indirect_call, 0
	.section	.AMDGPU.csdata,"",@progbits
; Kernel info:
; codeLenInByte = 24884
; TotalNumSgprs: 34
; NumVgprs: 36
; ScratchSize: 0
; MemoryBound: 0
; FloatMode: 240
; IeeeMode: 1
; LDSByteSize: 0 bytes/workgroup (compile time only)
; SGPRBlocks: 4
; VGPRBlocks: 8
; NumSGPRsForWavesPerEU: 34
; NumVGPRsForWavesPerEU: 36
; Occupancy: 7
; WaveLimiterHint : 1
; COMPUTE_PGM_RSRC2:SCRATCH_EN: 0
; COMPUTE_PGM_RSRC2:USER_SGPR: 6
; COMPUTE_PGM_RSRC2:TRAP_HANDLER: 0
; COMPUTE_PGM_RSRC2:TGID_X_EN: 1
; COMPUTE_PGM_RSRC2:TGID_Y_EN: 0
; COMPUTE_PGM_RSRC2:TGID_Z_EN: 0
; COMPUTE_PGM_RSRC2:TIDIG_COMP_CNT: 2
	.section	.text._Z32kernel_cg_group_partition_staticILj8EEvPibS0_,"axG",@progbits,_Z32kernel_cg_group_partition_staticILj8EEvPibS0_,comdat
	.protected	_Z32kernel_cg_group_partition_staticILj8EEvPibS0_ ; -- Begin function _Z32kernel_cg_group_partition_staticILj8EEvPibS0_
	.globl	_Z32kernel_cg_group_partition_staticILj8EEvPibS0_
	.p2align	8
	.type	_Z32kernel_cg_group_partition_staticILj8EEvPibS0_,@function
_Z32kernel_cg_group_partition_staticILj8EEvPibS0_: ; @_Z32kernel_cg_group_partition_staticILj8EEvPibS0_
; %bb.0:
	s_mov_b64 s[2:3], src_shared_base
	s_load_dword s2, s[4:5], 0x8
	s_load_dwordx2 s[0:1], s[4:5], 0x24
	s_load_dwordx2 s[8:9], s[4:5], 0x10
	s_waitcnt lgkmcnt(0)
	s_and_b32 s2, 1, s2
	s_add_u32 s6, s4, 24
	s_addc_u32 s7, s5, 0
	s_and_b32 s10, s1, 0xffff
	s_lshr_b32 s11, s0, 16
	s_and_b32 s0, s0, 0xffff
	s_cmp_lg_u32 0, -1
	v_mad_u32_u24 v1, v2, s11, v1
	s_cselect_b32 s12, 0, 0
	s_cselect_b32 s13, s3, 0
	s_cmp_eq_u32 s2, 1
	v_mad_u64_u32 v[26:27], s[2:3], v1, s0, v[0:1]
	s_mul_i32 s26, s11, s0
	s_mul_i32 s26, s26, s10
	s_mov_b32 s1, 0
	s_cselect_b32 s27, s9, s13
	s_cselect_b32 s28, s8, s12
	v_mov_b32_e32 v31, v26
	s_cmp_lt_u32 s26, 2
	v_mov_b32_e32 v34, v26
	s_cbranch_scc1 .LBB4_6
; %bb.1:
	v_ashrrev_i32_e32 v27, 31, v26
	v_lshlrev_b64 v[0:1], 2, v[26:27]
	v_mov_b32_e32 v2, s27
	v_add_co_u32_e32 v0, vcc, s28, v0
	v_addc_co_u32_e32 v1, vcc, v2, v1, vcc
	s_mov_b32 s8, s26
	v_mov_b32_e32 v34, v31
.LBB4_2:                                ; =>This Inner Loop Header: Depth=1
	s_lshr_b32 s0, s8, 1
	v_cmp_gt_i32_e32 vcc, s0, v26
	flat_store_dword v[0:1], v34
	s_waitcnt vmcnt(0) lgkmcnt(0)
	s_barrier
	s_and_saveexec_b64 s[2:3], vcc
	s_cbranch_execz .LBB4_4
; %bb.3:                                ;   in Loop: Header=BB4_2 Depth=1
	s_lshl_b64 s[10:11], s[0:1], 2
	v_mov_b32_e32 v3, s11
	v_add_co_u32_e32 v2, vcc, s10, v0
	v_addc_co_u32_e32 v3, vcc, v1, v3, vcc
	flat_load_dword v2, v[2:3]
	s_waitcnt vmcnt(0) lgkmcnt(0)
	v_add_u32_e32 v34, v2, v34
.LBB4_4:                                ;   in Loop: Header=BB4_2 Depth=1
	s_or_b64 exec, exec, s[2:3]
	s_cmp_gt_u32 s8, 3
	s_barrier
	s_cbranch_scc0 .LBB4_6
; %bb.5:                                ;   in Loop: Header=BB4_2 Depth=1
	s_mov_b32 s8, s0
	s_branch .LBB4_2
.LBB4_6:
	v_cmp_eq_u32_e64 s[0:1], 0, v26
	s_and_saveexec_b64 s[8:9], s[0:1]
	s_cbranch_execz .LBB4_408
; %bb.7:
	s_load_dwordx2 s[10:11], s[6:7], 0x50
	v_mbcnt_lo_u32_b32 v0, -1, 0
	v_mbcnt_hi_u32_b32 v33, -1, v0
	v_readfirstlane_b32 s2, v33
	v_mov_b32_e32 v5, 0
	v_mov_b32_e32 v6, 0
	v_cmp_eq_u32_e64 s[2:3], s2, v33
	s_and_saveexec_b64 s[12:13], s[2:3]
	s_cbranch_execz .LBB4_13
; %bb.8:
	v_mov_b32_e32 v0, 0
	s_waitcnt lgkmcnt(0)
	global_load_dwordx2 v[3:4], v0, s[10:11] offset:24 glc
	s_waitcnt vmcnt(0)
	buffer_wbinvl1_vol
	global_load_dwordx2 v[1:2], v0, s[10:11] offset:40
	global_load_dwordx2 v[5:6], v0, s[10:11]
	s_waitcnt vmcnt(1)
	v_and_b32_e32 v1, v1, v3
	v_and_b32_e32 v2, v2, v4
	v_mul_lo_u32 v2, v2, 24
	v_mul_hi_u32 v7, v1, 24
	v_mul_lo_u32 v1, v1, 24
	v_add_u32_e32 v2, v7, v2
	s_waitcnt vmcnt(0)
	v_add_co_u32_e32 v1, vcc, v5, v1
	v_addc_co_u32_e32 v2, vcc, v6, v2, vcc
	global_load_dwordx2 v[1:2], v[1:2], off glc
	s_waitcnt vmcnt(0)
	global_atomic_cmpswap_x2 v[5:6], v0, v[1:4], s[10:11] offset:24 glc
	s_waitcnt vmcnt(0)
	buffer_wbinvl1_vol
	v_cmp_ne_u64_e32 vcc, v[5:6], v[3:4]
	s_and_saveexec_b64 s[14:15], vcc
	s_cbranch_execz .LBB4_12
; %bb.9:
	s_mov_b64 s[16:17], 0
.LBB4_10:                               ; =>This Inner Loop Header: Depth=1
	s_sleep 1
	global_load_dwordx2 v[1:2], v0, s[10:11] offset:40
	global_load_dwordx2 v[7:8], v0, s[10:11]
	v_mov_b32_e32 v3, v5
	v_mov_b32_e32 v4, v6
	s_waitcnt vmcnt(1)
	v_and_b32_e32 v1, v1, v3
	s_waitcnt vmcnt(0)
	v_mad_u64_u32 v[5:6], s[18:19], v1, 24, v[7:8]
	v_and_b32_e32 v2, v2, v4
	v_mov_b32_e32 v1, v6
	v_mad_u64_u32 v[1:2], s[18:19], v2, 24, v[1:2]
	v_mov_b32_e32 v6, v1
	global_load_dwordx2 v[1:2], v[5:6], off glc
	s_waitcnt vmcnt(0)
	global_atomic_cmpswap_x2 v[5:6], v0, v[1:4], s[10:11] offset:24 glc
	s_waitcnt vmcnt(0)
	buffer_wbinvl1_vol
	v_cmp_eq_u64_e32 vcc, v[5:6], v[3:4]
	s_or_b64 s[16:17], vcc, s[16:17]
	s_andn2_b64 exec, exec, s[16:17]
	s_cbranch_execnz .LBB4_10
; %bb.11:
	s_or_b64 exec, exec, s[16:17]
.LBB4_12:
	s_or_b64 exec, exec, s[14:15]
.LBB4_13:
	s_or_b64 exec, exec, s[12:13]
	v_mov_b32_e32 v4, 0
	s_waitcnt lgkmcnt(0)
	global_load_dwordx2 v[7:8], v4, s[10:11] offset:40
	global_load_dwordx4 v[0:3], v4, s[10:11]
	v_readfirstlane_b32 s13, v6
	v_readfirstlane_b32 s12, v5
	s_mov_b64 s[14:15], exec
	s_waitcnt vmcnt(1)
	v_readfirstlane_b32 s16, v7
	v_readfirstlane_b32 s17, v8
	s_and_b64 s[16:17], s[16:17], s[12:13]
	s_mul_i32 s18, s17, 24
	s_mul_hi_u32 s19, s16, 24
	s_mul_i32 s20, s16, 24
	s_add_i32 s18, s19, s18
	v_mov_b32_e32 v5, s18
	s_waitcnt vmcnt(0)
	v_add_co_u32_e32 v7, vcc, s20, v0
	v_addc_co_u32_e32 v8, vcc, v1, v5, vcc
	s_and_saveexec_b64 s[18:19], s[2:3]
	s_cbranch_execz .LBB4_15
; %bb.14:
	v_mov_b32_e32 v9, s14
	v_mov_b32_e32 v10, s15
	;; [unrolled: 1-line block ×4, first 2 shown]
	global_store_dwordx4 v[7:8], v[9:12], off offset:8
.LBB4_15:
	s_or_b64 exec, exec, s[18:19]
	s_lshl_b64 s[14:15], s[16:17], 12
	v_mov_b32_e32 v5, s15
	v_add_co_u32_e32 v2, vcc, s14, v2
	v_addc_co_u32_e32 v11, vcc, v3, v5, vcc
	v_lshlrev_b32_e32 v32, 6, v33
	s_mov_b32 s16, 0
	v_mov_b32_e32 v3, 33
	v_mov_b32_e32 v5, v4
	;; [unrolled: 1-line block ×3, first 2 shown]
	v_readfirstlane_b32 s14, v2
	v_readfirstlane_b32 s15, v11
	v_add_co_u32_e32 v9, vcc, v2, v32
	s_mov_b32 s17, s16
	s_mov_b32 s18, s16
	;; [unrolled: 1-line block ×3, first 2 shown]
	s_nop 0
	global_store_dwordx4 v32, v[3:6], s[14:15]
	v_mov_b32_e32 v2, s16
	v_addc_co_u32_e32 v10, vcc, 0, v11, vcc
	v_mov_b32_e32 v3, s17
	v_mov_b32_e32 v4, s18
	;; [unrolled: 1-line block ×3, first 2 shown]
	global_store_dwordx4 v32, v[2:5], s[14:15] offset:16
	global_store_dwordx4 v32, v[2:5], s[14:15] offset:32
	;; [unrolled: 1-line block ×3, first 2 shown]
	s_and_saveexec_b64 s[14:15], s[2:3]
	s_cbranch_execz .LBB4_23
; %bb.16:
	v_mov_b32_e32 v6, 0
	global_load_dwordx2 v[13:14], v6, s[10:11] offset:32 glc
	global_load_dwordx2 v[2:3], v6, s[10:11] offset:40
	v_mov_b32_e32 v11, s12
	v_mov_b32_e32 v12, s13
	s_waitcnt vmcnt(0)
	v_and_b32_e32 v2, s12, v2
	v_and_b32_e32 v3, s13, v3
	v_mul_lo_u32 v3, v3, 24
	v_mul_hi_u32 v4, v2, 24
	v_mul_lo_u32 v2, v2, 24
	v_add_u32_e32 v3, v4, v3
	v_add_co_u32_e32 v4, vcc, v0, v2
	v_addc_co_u32_e32 v5, vcc, v1, v3, vcc
	global_store_dwordx2 v[4:5], v[13:14], off
	s_waitcnt vmcnt(0)
	global_atomic_cmpswap_x2 v[2:3], v6, v[11:14], s[10:11] offset:32 glc
	s_waitcnt vmcnt(0)
	v_cmp_ne_u64_e32 vcc, v[2:3], v[13:14]
	s_and_saveexec_b64 s[16:17], vcc
	s_cbranch_execz .LBB4_19
; %bb.17:
	s_mov_b64 s[18:19], 0
.LBB4_18:                               ; =>This Inner Loop Header: Depth=1
	s_sleep 1
	global_store_dwordx2 v[4:5], v[2:3], off
	v_mov_b32_e32 v0, s12
	v_mov_b32_e32 v1, s13
	s_waitcnt vmcnt(0)
	global_atomic_cmpswap_x2 v[0:1], v6, v[0:3], s[10:11] offset:32 glc
	s_waitcnt vmcnt(0)
	v_cmp_eq_u64_e32 vcc, v[0:1], v[2:3]
	v_mov_b32_e32 v3, v1
	s_or_b64 s[18:19], vcc, s[18:19]
	v_mov_b32_e32 v2, v0
	s_andn2_b64 exec, exec, s[18:19]
	s_cbranch_execnz .LBB4_18
.LBB4_19:
	s_or_b64 exec, exec, s[16:17]
	v_mov_b32_e32 v3, 0
	global_load_dwordx2 v[0:1], v3, s[10:11] offset:16
	s_mov_b64 s[16:17], exec
	v_mbcnt_lo_u32_b32 v2, s16, 0
	v_mbcnt_hi_u32_b32 v2, s17, v2
	v_cmp_eq_u32_e32 vcc, 0, v2
	s_and_saveexec_b64 s[18:19], vcc
	s_cbranch_execz .LBB4_21
; %bb.20:
	s_bcnt1_i32_b64 s16, s[16:17]
	v_mov_b32_e32 v2, s16
	s_waitcnt vmcnt(0)
	global_atomic_add_x2 v[0:1], v[2:3], off offset:8
.LBB4_21:
	s_or_b64 exec, exec, s[18:19]
	s_waitcnt vmcnt(0)
	global_load_dwordx2 v[2:3], v[0:1], off offset:16
	s_waitcnt vmcnt(0)
	v_cmp_eq_u64_e32 vcc, 0, v[2:3]
	s_cbranch_vccnz .LBB4_23
; %bb.22:
	global_load_dword v0, v[0:1], off offset:24
	v_mov_b32_e32 v1, 0
	s_waitcnt vmcnt(0)
	v_readfirstlane_b32 s16, v0
	s_and_b32 m0, s16, 0xffffff
	global_store_dwordx2 v[2:3], v[0:1], off
	s_sendmsg sendmsg(MSG_INTERRUPT)
.LBB4_23:
	s_or_b64 exec, exec, s[14:15]
	s_branch .LBB4_27
.LBB4_24:                               ;   in Loop: Header=BB4_27 Depth=1
	s_or_b64 exec, exec, s[14:15]
	v_readfirstlane_b32 s14, v0
	s_cmp_eq_u32 s14, 0
	s_cbranch_scc1 .LBB4_26
; %bb.25:                               ;   in Loop: Header=BB4_27 Depth=1
	s_sleep 1
	s_cbranch_execnz .LBB4_27
	s_branch .LBB4_29
.LBB4_26:
	s_branch .LBB4_29
.LBB4_27:                               ; =>This Inner Loop Header: Depth=1
	v_mov_b32_e32 v0, 1
	s_and_saveexec_b64 s[14:15], s[2:3]
	s_cbranch_execz .LBB4_24
; %bb.28:                               ;   in Loop: Header=BB4_27 Depth=1
	global_load_dword v0, v[7:8], off offset:20 glc
	s_waitcnt vmcnt(0)
	buffer_wbinvl1_vol
	v_and_b32_e32 v0, 1, v0
	s_branch .LBB4_24
.LBB4_29:
	global_load_dwordx2 v[0:1], v[9:10], off
	s_and_saveexec_b64 s[14:15], s[2:3]
	s_cbranch_execz .LBB4_32
; %bb.30:
	v_mov_b32_e32 v8, 0
	global_load_dwordx2 v[2:3], v8, s[10:11] offset:40
	global_load_dwordx2 v[11:12], v8, s[10:11] offset:24 glc
	global_load_dwordx2 v[4:5], v8, s[10:11]
	s_waitcnt vmcnt(2)
	v_readfirstlane_b32 s16, v2
	v_readfirstlane_b32 s17, v3
	s_add_u32 s18, s16, 1
	s_addc_u32 s19, s17, 0
	s_add_u32 s2, s18, s12
	s_addc_u32 s3, s19, s13
	s_cmp_eq_u64 s[2:3], 0
	s_cselect_b32 s3, s19, s3
	s_cselect_b32 s2, s18, s2
	s_and_b64 s[12:13], s[2:3], s[16:17]
	s_mul_i32 s13, s13, 24
	s_mul_hi_u32 s16, s12, 24
	s_mul_i32 s12, s12, 24
	s_add_i32 s13, s16, s13
	v_mov_b32_e32 v2, s13
	s_waitcnt vmcnt(0)
	v_add_co_u32_e32 v6, vcc, s12, v4
	v_addc_co_u32_e32 v7, vcc, v5, v2, vcc
	v_mov_b32_e32 v9, s2
	global_store_dwordx2 v[6:7], v[11:12], off
	v_mov_b32_e32 v10, s3
	s_waitcnt vmcnt(0)
	global_atomic_cmpswap_x2 v[4:5], v8, v[9:12], s[10:11] offset:24 glc
	s_mov_b64 s[12:13], 0
	s_waitcnt vmcnt(0)
	v_cmp_ne_u64_e32 vcc, v[4:5], v[11:12]
	s_and_b64 exec, exec, vcc
	s_cbranch_execz .LBB4_32
.LBB4_31:                               ; =>This Inner Loop Header: Depth=1
	s_sleep 1
	global_store_dwordx2 v[6:7], v[4:5], off
	v_mov_b32_e32 v2, s2
	v_mov_b32_e32 v3, s3
	s_waitcnt vmcnt(0)
	global_atomic_cmpswap_x2 v[2:3], v8, v[2:5], s[10:11] offset:24 glc
	s_waitcnt vmcnt(0)
	v_cmp_eq_u64_e32 vcc, v[2:3], v[4:5]
	v_mov_b32_e32 v5, v3
	s_or_b64 s[12:13], vcc, s[12:13]
	v_mov_b32_e32 v4, v2
	s_andn2_b64 exec, exec, s[12:13]
	s_cbranch_execnz .LBB4_31
.LBB4_32:
	s_or_b64 exec, exec, s[14:15]
	s_getpc_b64 s[12:13]
	s_add_u32 s12, s12, .str.8@rel32@lo+4
	s_addc_u32 s13, s13, .str.8@rel32@hi+12
	s_cmp_lg_u64 s[12:13], 0
	s_cbranch_scc0 .LBB4_118
; %bb.33:
	s_waitcnt vmcnt(0)
	v_and_b32_e32 v35, 2, v0
	v_mov_b32_e32 v28, 0
	v_and_b32_e32 v2, -3, v0
	v_mov_b32_e32 v3, v1
	s_mov_b64 s[14:15], 0x4d
	v_mov_b32_e32 v8, 2
	v_mov_b32_e32 v9, 1
	s_branch .LBB4_35
.LBB4_34:                               ;   in Loop: Header=BB4_35 Depth=1
	s_or_b64 exec, exec, s[20:21]
	s_sub_u32 s14, s14, s16
	s_subb_u32 s15, s15, s17
	s_add_u32 s12, s12, s16
	s_addc_u32 s13, s13, s17
	s_cmp_lg_u64 s[14:15], 0
	s_cbranch_scc0 .LBB4_117
.LBB4_35:                               ; =>This Loop Header: Depth=1
                                        ;     Child Loop BB4_38 Depth 2
                                        ;     Child Loop BB4_46 Depth 2
	;; [unrolled: 1-line block ×11, first 2 shown]
	v_cmp_lt_u64_e64 s[2:3], s[14:15], 56
	v_cmp_gt_u64_e64 s[18:19], s[14:15], 7
	s_and_b64 s[2:3], s[2:3], exec
	s_cselect_b32 s17, s15, 0
	s_cselect_b32 s16, s14, 56
	s_add_u32 s2, s12, 8
	s_addc_u32 s3, s13, 0
	s_and_b64 vcc, exec, s[18:19]
	s_cbranch_vccnz .LBB4_39
; %bb.36:                               ;   in Loop: Header=BB4_35 Depth=1
	s_cmp_eq_u64 s[14:15], 0
	s_cbranch_scc1 .LBB4_40
; %bb.37:                               ;   in Loop: Header=BB4_35 Depth=1
	v_mov_b32_e32 v4, 0
	s_lshl_b64 s[2:3], s[16:17], 3
	s_mov_b64 s[18:19], 0
	v_mov_b32_e32 v5, 0
	s_mov_b64 s[20:21], s[12:13]
.LBB4_38:                               ;   Parent Loop BB4_35 Depth=1
                                        ; =>  This Inner Loop Header: Depth=2
	global_load_ubyte v6, v28, s[20:21]
	s_waitcnt vmcnt(0)
	v_and_b32_e32 v27, 0xffff, v6
	v_lshlrev_b64 v[6:7], s18, v[27:28]
	s_add_u32 s18, s18, 8
	s_addc_u32 s19, s19, 0
	s_add_u32 s20, s20, 1
	s_addc_u32 s21, s21, 0
	v_or_b32_e32 v4, v6, v4
	s_cmp_lg_u32 s2, s18
	v_or_b32_e32 v5, v7, v5
	s_cbranch_scc1 .LBB4_38
	s_branch .LBB4_41
.LBB4_39:                               ;   in Loop: Header=BB4_35 Depth=1
	s_mov_b32 s22, 0
	s_branch .LBB4_42
.LBB4_40:                               ;   in Loop: Header=BB4_35 Depth=1
	v_mov_b32_e32 v4, 0
	v_mov_b32_e32 v5, 0
.LBB4_41:                               ;   in Loop: Header=BB4_35 Depth=1
	s_mov_b64 s[2:3], s[12:13]
	s_mov_b32 s22, 0
	s_cbranch_execnz .LBB4_43
.LBB4_42:                               ;   in Loop: Header=BB4_35 Depth=1
	global_load_dwordx2 v[4:5], v28, s[12:13]
	s_add_i32 s22, s16, -8
.LBB4_43:                               ;   in Loop: Header=BB4_35 Depth=1
	s_add_u32 s18, s2, 8
	s_addc_u32 s19, s3, 0
	s_cmp_gt_u32 s22, 7
	s_cbranch_scc1 .LBB4_47
; %bb.44:                               ;   in Loop: Header=BB4_35 Depth=1
	s_cmp_eq_u32 s22, 0
	s_cbranch_scc1 .LBB4_48
; %bb.45:                               ;   in Loop: Header=BB4_35 Depth=1
	v_mov_b32_e32 v10, 0
	s_mov_b64 s[18:19], 0
	v_mov_b32_e32 v11, 0
	s_mov_b64 s[20:21], 0
.LBB4_46:                               ;   Parent Loop BB4_35 Depth=1
                                        ; =>  This Inner Loop Header: Depth=2
	s_add_u32 s24, s2, s20
	s_addc_u32 s25, s3, s21
	global_load_ubyte v6, v28, s[24:25]
	s_add_u32 s20, s20, 1
	s_addc_u32 s21, s21, 0
	s_waitcnt vmcnt(0)
	v_and_b32_e32 v27, 0xffff, v6
	v_lshlrev_b64 v[6:7], s18, v[27:28]
	s_add_u32 s18, s18, 8
	s_addc_u32 s19, s19, 0
	v_or_b32_e32 v10, v6, v10
	s_cmp_lg_u32 s22, s20
	v_or_b32_e32 v11, v7, v11
	s_cbranch_scc1 .LBB4_46
	s_branch .LBB4_49
.LBB4_47:                               ;   in Loop: Header=BB4_35 Depth=1
                                        ; implicit-def: $vgpr10_vgpr11
	s_mov_b32 s23, 0
	s_branch .LBB4_50
.LBB4_48:                               ;   in Loop: Header=BB4_35 Depth=1
	v_mov_b32_e32 v10, 0
	v_mov_b32_e32 v11, 0
.LBB4_49:                               ;   in Loop: Header=BB4_35 Depth=1
	s_mov_b64 s[18:19], s[2:3]
	s_mov_b32 s23, 0
	s_cbranch_execnz .LBB4_51
.LBB4_50:                               ;   in Loop: Header=BB4_35 Depth=1
	global_load_dwordx2 v[10:11], v28, s[2:3]
	s_add_i32 s23, s22, -8
.LBB4_51:                               ;   in Loop: Header=BB4_35 Depth=1
	s_add_u32 s2, s18, 8
	s_addc_u32 s3, s19, 0
	s_cmp_gt_u32 s23, 7
	s_cbranch_scc1 .LBB4_55
; %bb.52:                               ;   in Loop: Header=BB4_35 Depth=1
	s_cmp_eq_u32 s23, 0
	s_cbranch_scc1 .LBB4_56
; %bb.53:                               ;   in Loop: Header=BB4_35 Depth=1
	v_mov_b32_e32 v12, 0
	s_mov_b64 s[2:3], 0
	v_mov_b32_e32 v13, 0
	s_mov_b64 s[20:21], 0
.LBB4_54:                               ;   Parent Loop BB4_35 Depth=1
                                        ; =>  This Inner Loop Header: Depth=2
	s_add_u32 s24, s18, s20
	s_addc_u32 s25, s19, s21
	global_load_ubyte v6, v28, s[24:25]
	s_add_u32 s20, s20, 1
	s_addc_u32 s21, s21, 0
	s_waitcnt vmcnt(0)
	v_and_b32_e32 v27, 0xffff, v6
	v_lshlrev_b64 v[6:7], s2, v[27:28]
	s_add_u32 s2, s2, 8
	s_addc_u32 s3, s3, 0
	v_or_b32_e32 v12, v6, v12
	s_cmp_lg_u32 s23, s20
	v_or_b32_e32 v13, v7, v13
	s_cbranch_scc1 .LBB4_54
	s_branch .LBB4_57
.LBB4_55:                               ;   in Loop: Header=BB4_35 Depth=1
	s_mov_b32 s22, 0
	s_branch .LBB4_58
.LBB4_56:                               ;   in Loop: Header=BB4_35 Depth=1
	v_mov_b32_e32 v12, 0
	v_mov_b32_e32 v13, 0
.LBB4_57:                               ;   in Loop: Header=BB4_35 Depth=1
	s_mov_b64 s[2:3], s[18:19]
	s_mov_b32 s22, 0
	s_cbranch_execnz .LBB4_59
.LBB4_58:                               ;   in Loop: Header=BB4_35 Depth=1
	global_load_dwordx2 v[12:13], v28, s[18:19]
	s_add_i32 s22, s23, -8
.LBB4_59:                               ;   in Loop: Header=BB4_35 Depth=1
	s_add_u32 s18, s2, 8
	s_addc_u32 s19, s3, 0
	s_cmp_gt_u32 s22, 7
	s_cbranch_scc1 .LBB4_63
; %bb.60:                               ;   in Loop: Header=BB4_35 Depth=1
	s_cmp_eq_u32 s22, 0
	s_cbranch_scc1 .LBB4_64
; %bb.61:                               ;   in Loop: Header=BB4_35 Depth=1
	v_mov_b32_e32 v14, 0
	s_mov_b64 s[18:19], 0
	v_mov_b32_e32 v15, 0
	s_mov_b64 s[20:21], 0
.LBB4_62:                               ;   Parent Loop BB4_35 Depth=1
                                        ; =>  This Inner Loop Header: Depth=2
	s_add_u32 s24, s2, s20
	s_addc_u32 s25, s3, s21
	global_load_ubyte v6, v28, s[24:25]
	s_add_u32 s20, s20, 1
	s_addc_u32 s21, s21, 0
	s_waitcnt vmcnt(0)
	v_and_b32_e32 v27, 0xffff, v6
	v_lshlrev_b64 v[6:7], s18, v[27:28]
	s_add_u32 s18, s18, 8
	s_addc_u32 s19, s19, 0
	v_or_b32_e32 v14, v6, v14
	s_cmp_lg_u32 s22, s20
	v_or_b32_e32 v15, v7, v15
	s_cbranch_scc1 .LBB4_62
	s_branch .LBB4_65
.LBB4_63:                               ;   in Loop: Header=BB4_35 Depth=1
                                        ; implicit-def: $vgpr14_vgpr15
	s_mov_b32 s23, 0
	s_branch .LBB4_66
.LBB4_64:                               ;   in Loop: Header=BB4_35 Depth=1
	v_mov_b32_e32 v14, 0
	v_mov_b32_e32 v15, 0
.LBB4_65:                               ;   in Loop: Header=BB4_35 Depth=1
	s_mov_b64 s[18:19], s[2:3]
	s_mov_b32 s23, 0
	s_cbranch_execnz .LBB4_67
.LBB4_66:                               ;   in Loop: Header=BB4_35 Depth=1
	global_load_dwordx2 v[14:15], v28, s[2:3]
	s_add_i32 s23, s22, -8
.LBB4_67:                               ;   in Loop: Header=BB4_35 Depth=1
	s_add_u32 s2, s18, 8
	s_addc_u32 s3, s19, 0
	s_cmp_gt_u32 s23, 7
	s_cbranch_scc1 .LBB4_71
; %bb.68:                               ;   in Loop: Header=BB4_35 Depth=1
	s_cmp_eq_u32 s23, 0
	s_cbranch_scc1 .LBB4_72
; %bb.69:                               ;   in Loop: Header=BB4_35 Depth=1
	v_mov_b32_e32 v16, 0
	s_mov_b64 s[2:3], 0
	v_mov_b32_e32 v17, 0
	s_mov_b64 s[20:21], 0
.LBB4_70:                               ;   Parent Loop BB4_35 Depth=1
                                        ; =>  This Inner Loop Header: Depth=2
	s_add_u32 s24, s18, s20
	s_addc_u32 s25, s19, s21
	global_load_ubyte v6, v28, s[24:25]
	s_add_u32 s20, s20, 1
	s_addc_u32 s21, s21, 0
	s_waitcnt vmcnt(0)
	v_and_b32_e32 v27, 0xffff, v6
	v_lshlrev_b64 v[6:7], s2, v[27:28]
	s_add_u32 s2, s2, 8
	s_addc_u32 s3, s3, 0
	v_or_b32_e32 v16, v6, v16
	s_cmp_lg_u32 s23, s20
	v_or_b32_e32 v17, v7, v17
	s_cbranch_scc1 .LBB4_70
	s_branch .LBB4_73
.LBB4_71:                               ;   in Loop: Header=BB4_35 Depth=1
	s_mov_b32 s22, 0
	s_branch .LBB4_74
.LBB4_72:                               ;   in Loop: Header=BB4_35 Depth=1
	v_mov_b32_e32 v16, 0
	v_mov_b32_e32 v17, 0
.LBB4_73:                               ;   in Loop: Header=BB4_35 Depth=1
	s_mov_b64 s[2:3], s[18:19]
	s_mov_b32 s22, 0
	s_cbranch_execnz .LBB4_75
.LBB4_74:                               ;   in Loop: Header=BB4_35 Depth=1
	global_load_dwordx2 v[16:17], v28, s[18:19]
	s_add_i32 s22, s23, -8
.LBB4_75:                               ;   in Loop: Header=BB4_35 Depth=1
	s_add_u32 s18, s2, 8
	s_addc_u32 s19, s3, 0
	s_cmp_gt_u32 s22, 7
	s_cbranch_scc1 .LBB4_79
; %bb.76:                               ;   in Loop: Header=BB4_35 Depth=1
	s_cmp_eq_u32 s22, 0
	s_cbranch_scc1 .LBB4_80
; %bb.77:                               ;   in Loop: Header=BB4_35 Depth=1
	v_mov_b32_e32 v18, 0
	s_mov_b64 s[18:19], 0
	v_mov_b32_e32 v19, 0
	s_mov_b64 s[20:21], 0
.LBB4_78:                               ;   Parent Loop BB4_35 Depth=1
                                        ; =>  This Inner Loop Header: Depth=2
	s_add_u32 s24, s2, s20
	s_addc_u32 s25, s3, s21
	global_load_ubyte v6, v28, s[24:25]
	s_add_u32 s20, s20, 1
	s_addc_u32 s21, s21, 0
	s_waitcnt vmcnt(0)
	v_and_b32_e32 v27, 0xffff, v6
	v_lshlrev_b64 v[6:7], s18, v[27:28]
	s_add_u32 s18, s18, 8
	s_addc_u32 s19, s19, 0
	v_or_b32_e32 v18, v6, v18
	s_cmp_lg_u32 s22, s20
	v_or_b32_e32 v19, v7, v19
	s_cbranch_scc1 .LBB4_78
	s_branch .LBB4_81
.LBB4_79:                               ;   in Loop: Header=BB4_35 Depth=1
                                        ; implicit-def: $vgpr18_vgpr19
	s_mov_b32 s23, 0
	s_branch .LBB4_82
.LBB4_80:                               ;   in Loop: Header=BB4_35 Depth=1
	v_mov_b32_e32 v18, 0
	v_mov_b32_e32 v19, 0
.LBB4_81:                               ;   in Loop: Header=BB4_35 Depth=1
	s_mov_b64 s[18:19], s[2:3]
	s_mov_b32 s23, 0
	s_cbranch_execnz .LBB4_83
.LBB4_82:                               ;   in Loop: Header=BB4_35 Depth=1
	global_load_dwordx2 v[18:19], v28, s[2:3]
	s_add_i32 s23, s22, -8
.LBB4_83:                               ;   in Loop: Header=BB4_35 Depth=1
	s_cmp_gt_u32 s23, 7
	s_cbranch_scc1 .LBB4_87
; %bb.84:                               ;   in Loop: Header=BB4_35 Depth=1
	s_cmp_eq_u32 s23, 0
	s_cbranch_scc1 .LBB4_88
; %bb.85:                               ;   in Loop: Header=BB4_35 Depth=1
	v_mov_b32_e32 v20, 0
	s_mov_b64 s[2:3], 0
	v_mov_b32_e32 v21, 0
	s_mov_b64 s[20:21], s[18:19]
.LBB4_86:                               ;   Parent Loop BB4_35 Depth=1
                                        ; =>  This Inner Loop Header: Depth=2
	global_load_ubyte v6, v28, s[20:21]
	s_add_i32 s23, s23, -1
	s_waitcnt vmcnt(0)
	v_and_b32_e32 v27, 0xffff, v6
	v_lshlrev_b64 v[6:7], s2, v[27:28]
	s_add_u32 s2, s2, 8
	s_addc_u32 s3, s3, 0
	s_add_u32 s20, s20, 1
	s_addc_u32 s21, s21, 0
	v_or_b32_e32 v20, v6, v20
	s_cmp_lg_u32 s23, 0
	v_or_b32_e32 v21, v7, v21
	s_cbranch_scc1 .LBB4_86
	s_branch .LBB4_89
.LBB4_87:                               ;   in Loop: Header=BB4_35 Depth=1
	s_branch .LBB4_90
.LBB4_88:                               ;   in Loop: Header=BB4_35 Depth=1
	v_mov_b32_e32 v20, 0
	v_mov_b32_e32 v21, 0
.LBB4_89:                               ;   in Loop: Header=BB4_35 Depth=1
	s_cbranch_execnz .LBB4_91
.LBB4_90:                               ;   in Loop: Header=BB4_35 Depth=1
	global_load_dwordx2 v[20:21], v28, s[18:19]
.LBB4_91:                               ;   in Loop: Header=BB4_35 Depth=1
	v_readfirstlane_b32 s2, v33
	v_mov_b32_e32 v6, 0
	v_mov_b32_e32 v7, 0
	v_cmp_eq_u32_e64 s[2:3], s2, v33
	s_and_saveexec_b64 s[18:19], s[2:3]
	s_cbranch_execz .LBB4_97
; %bb.92:                               ;   in Loop: Header=BB4_35 Depth=1
	global_load_dwordx2 v[24:25], v28, s[10:11] offset:24 glc
	s_waitcnt vmcnt(0)
	buffer_wbinvl1_vol
	global_load_dwordx2 v[6:7], v28, s[10:11] offset:40
	global_load_dwordx2 v[22:23], v28, s[10:11]
	s_waitcnt vmcnt(1)
	v_and_b32_e32 v6, v6, v24
	v_and_b32_e32 v7, v7, v25
	v_mul_lo_u32 v7, v7, 24
	v_mul_hi_u32 v27, v6, 24
	v_mul_lo_u32 v6, v6, 24
	v_add_u32_e32 v7, v27, v7
	s_waitcnt vmcnt(0)
	v_add_co_u32_e32 v6, vcc, v22, v6
	v_addc_co_u32_e32 v7, vcc, v23, v7, vcc
	global_load_dwordx2 v[22:23], v[6:7], off glc
	s_waitcnt vmcnt(0)
	global_atomic_cmpswap_x2 v[6:7], v28, v[22:25], s[10:11] offset:24 glc
	s_waitcnt vmcnt(0)
	buffer_wbinvl1_vol
	v_cmp_ne_u64_e32 vcc, v[6:7], v[24:25]
	s_and_saveexec_b64 s[20:21], vcc
	s_cbranch_execz .LBB4_96
; %bb.93:                               ;   in Loop: Header=BB4_35 Depth=1
	s_mov_b64 s[22:23], 0
.LBB4_94:                               ;   Parent Loop BB4_35 Depth=1
                                        ; =>  This Inner Loop Header: Depth=2
	s_sleep 1
	global_load_dwordx2 v[22:23], v28, s[10:11] offset:40
	global_load_dwordx2 v[29:30], v28, s[10:11]
	v_mov_b32_e32 v25, v7
	v_mov_b32_e32 v24, v6
	s_waitcnt vmcnt(1)
	v_and_b32_e32 v6, v22, v24
	s_waitcnt vmcnt(0)
	v_mad_u64_u32 v[6:7], s[24:25], v6, 24, v[29:30]
	v_and_b32_e32 v22, v23, v25
	v_mad_u64_u32 v[22:23], s[24:25], v22, 24, v[7:8]
	v_mov_b32_e32 v7, v22
	global_load_dwordx2 v[22:23], v[6:7], off glc
	s_waitcnt vmcnt(0)
	global_atomic_cmpswap_x2 v[6:7], v28, v[22:25], s[10:11] offset:24 glc
	s_waitcnt vmcnt(0)
	buffer_wbinvl1_vol
	v_cmp_eq_u64_e32 vcc, v[6:7], v[24:25]
	s_or_b64 s[22:23], vcc, s[22:23]
	s_andn2_b64 exec, exec, s[22:23]
	s_cbranch_execnz .LBB4_94
; %bb.95:                               ;   in Loop: Header=BB4_35 Depth=1
	s_or_b64 exec, exec, s[22:23]
.LBB4_96:                               ;   in Loop: Header=BB4_35 Depth=1
	s_or_b64 exec, exec, s[20:21]
.LBB4_97:                               ;   in Loop: Header=BB4_35 Depth=1
	s_or_b64 exec, exec, s[18:19]
	global_load_dwordx2 v[29:30], v28, s[10:11] offset:40
	global_load_dwordx4 v[22:25], v28, s[10:11]
	v_readfirstlane_b32 s19, v7
	v_readfirstlane_b32 s18, v6
	s_mov_b64 s[20:21], exec
	s_waitcnt vmcnt(1)
	v_readfirstlane_b32 s22, v29
	v_readfirstlane_b32 s23, v30
	s_and_b64 s[22:23], s[22:23], s[18:19]
	s_mul_i32 s24, s23, 24
	s_mul_hi_u32 s25, s22, 24
	s_mul_i32 s29, s22, 24
	s_add_i32 s24, s25, s24
	v_mov_b32_e32 v6, s24
	s_waitcnt vmcnt(0)
	v_add_co_u32_e32 v29, vcc, s29, v22
	v_addc_co_u32_e32 v30, vcc, v23, v6, vcc
	s_and_saveexec_b64 s[24:25], s[2:3]
	s_cbranch_execz .LBB4_99
; %bb.98:                               ;   in Loop: Header=BB4_35 Depth=1
	v_mov_b32_e32 v6, s20
	v_mov_b32_e32 v7, s21
	global_store_dwordx4 v[29:30], v[6:9], off offset:8
.LBB4_99:                               ;   in Loop: Header=BB4_35 Depth=1
	s_or_b64 exec, exec, s[24:25]
	s_lshl_b64 s[20:21], s[22:23], 12
	v_mov_b32_e32 v6, s21
	v_add_co_u32_e32 v24, vcc, s20, v24
	v_addc_co_u32_e32 v25, vcc, v25, v6, vcc
	v_cmp_lt_u64_e64 vcc, s[14:15], 57
	s_lshl_b32 s20, s16, 2
	v_cndmask_b32_e32 v6, 0, v35, vcc
	s_add_i32 s20, s20, 28
	v_and_b32_e32 v2, 0xffffff1f, v2
	s_and_b32 s20, s20, 0x1e0
	v_or_b32_e32 v2, v2, v6
	v_or_b32_e32 v2, s20, v2
	v_readfirstlane_b32 s20, v24
	v_readfirstlane_b32 s21, v25
	s_nop 4
	global_store_dwordx4 v32, v[2:5], s[20:21]
	global_store_dwordx4 v32, v[10:13], s[20:21] offset:16
	global_store_dwordx4 v32, v[14:17], s[20:21] offset:32
	global_store_dwordx4 v32, v[18:21], s[20:21] offset:48
	s_and_saveexec_b64 s[20:21], s[2:3]
	s_cbranch_execz .LBB4_107
; %bb.100:                              ;   in Loop: Header=BB4_35 Depth=1
	global_load_dwordx2 v[12:13], v28, s[10:11] offset:32 glc
	global_load_dwordx2 v[2:3], v28, s[10:11] offset:40
	v_mov_b32_e32 v10, s18
	v_mov_b32_e32 v11, s19
	s_waitcnt vmcnt(0)
	v_readfirstlane_b32 s22, v2
	v_readfirstlane_b32 s23, v3
	s_and_b64 s[22:23], s[22:23], s[18:19]
	s_mul_i32 s23, s23, 24
	s_mul_hi_u32 s24, s22, 24
	s_mul_i32 s22, s22, 24
	s_add_i32 s23, s24, s23
	v_mov_b32_e32 v2, s23
	v_add_co_u32_e32 v6, vcc, s22, v22
	v_addc_co_u32_e32 v7, vcc, v23, v2, vcc
	global_store_dwordx2 v[6:7], v[12:13], off
	s_waitcnt vmcnt(0)
	global_atomic_cmpswap_x2 v[4:5], v28, v[10:13], s[10:11] offset:32 glc
	s_waitcnt vmcnt(0)
	v_cmp_ne_u64_e32 vcc, v[4:5], v[12:13]
	s_and_saveexec_b64 s[22:23], vcc
	s_cbranch_execz .LBB4_103
; %bb.101:                              ;   in Loop: Header=BB4_35 Depth=1
	s_mov_b64 s[24:25], 0
.LBB4_102:                              ;   Parent Loop BB4_35 Depth=1
                                        ; =>  This Inner Loop Header: Depth=2
	s_sleep 1
	global_store_dwordx2 v[6:7], v[4:5], off
	v_mov_b32_e32 v2, s18
	v_mov_b32_e32 v3, s19
	s_waitcnt vmcnt(0)
	global_atomic_cmpswap_x2 v[2:3], v28, v[2:5], s[10:11] offset:32 glc
	s_waitcnt vmcnt(0)
	v_cmp_eq_u64_e32 vcc, v[2:3], v[4:5]
	v_mov_b32_e32 v5, v3
	s_or_b64 s[24:25], vcc, s[24:25]
	v_mov_b32_e32 v4, v2
	s_andn2_b64 exec, exec, s[24:25]
	s_cbranch_execnz .LBB4_102
.LBB4_103:                              ;   in Loop: Header=BB4_35 Depth=1
	s_or_b64 exec, exec, s[22:23]
	global_load_dwordx2 v[2:3], v28, s[10:11] offset:16
	s_mov_b64 s[24:25], exec
	v_mbcnt_lo_u32_b32 v4, s24, 0
	v_mbcnt_hi_u32_b32 v4, s25, v4
	v_cmp_eq_u32_e32 vcc, 0, v4
	s_and_saveexec_b64 s[22:23], vcc
	s_cbranch_execz .LBB4_105
; %bb.104:                              ;   in Loop: Header=BB4_35 Depth=1
	s_bcnt1_i32_b64 s24, s[24:25]
	v_mov_b32_e32 v27, s24
	s_waitcnt vmcnt(0)
	global_atomic_add_x2 v[2:3], v[27:28], off offset:8
.LBB4_105:                              ;   in Loop: Header=BB4_35 Depth=1
	s_or_b64 exec, exec, s[22:23]
	s_waitcnt vmcnt(0)
	global_load_dwordx2 v[4:5], v[2:3], off offset:16
	s_waitcnt vmcnt(0)
	v_cmp_eq_u64_e32 vcc, 0, v[4:5]
	s_cbranch_vccnz .LBB4_107
; %bb.106:                              ;   in Loop: Header=BB4_35 Depth=1
	global_load_dword v27, v[2:3], off offset:24
	s_waitcnt vmcnt(0)
	v_readfirstlane_b32 s22, v27
	s_and_b32 m0, s22, 0xffffff
	global_store_dwordx2 v[4:5], v[27:28], off
	s_sendmsg sendmsg(MSG_INTERRUPT)
.LBB4_107:                              ;   in Loop: Header=BB4_35 Depth=1
	s_or_b64 exec, exec, s[20:21]
	v_add_co_u32_e32 v2, vcc, v24, v32
	v_addc_co_u32_e32 v3, vcc, 0, v25, vcc
	s_branch .LBB4_111
.LBB4_108:                              ;   in Loop: Header=BB4_111 Depth=2
	s_or_b64 exec, exec, s[20:21]
	v_readfirstlane_b32 s20, v4
	s_cmp_eq_u32 s20, 0
	s_cbranch_scc1 .LBB4_110
; %bb.109:                              ;   in Loop: Header=BB4_111 Depth=2
	s_sleep 1
	s_cbranch_execnz .LBB4_111
	s_branch .LBB4_113
.LBB4_110:                              ;   in Loop: Header=BB4_35 Depth=1
	s_branch .LBB4_113
.LBB4_111:                              ;   Parent Loop BB4_35 Depth=1
                                        ; =>  This Inner Loop Header: Depth=2
	v_mov_b32_e32 v4, 1
	s_and_saveexec_b64 s[20:21], s[2:3]
	s_cbranch_execz .LBB4_108
; %bb.112:                              ;   in Loop: Header=BB4_111 Depth=2
	global_load_dword v4, v[29:30], off offset:20 glc
	s_waitcnt vmcnt(0)
	buffer_wbinvl1_vol
	v_and_b32_e32 v4, 1, v4
	s_branch .LBB4_108
.LBB4_113:                              ;   in Loop: Header=BB4_35 Depth=1
	global_load_dwordx2 v[2:3], v[2:3], off
	s_and_saveexec_b64 s[20:21], s[2:3]
	s_cbranch_execz .LBB4_34
; %bb.114:                              ;   in Loop: Header=BB4_35 Depth=1
	global_load_dwordx2 v[4:5], v28, s[10:11] offset:40
	global_load_dwordx2 v[14:15], v28, s[10:11] offset:24 glc
	global_load_dwordx2 v[6:7], v28, s[10:11]
	s_waitcnt vmcnt(2)
	v_readfirstlane_b32 s22, v4
	v_readfirstlane_b32 s23, v5
	s_add_u32 s24, s22, 1
	s_addc_u32 s25, s23, 0
	s_add_u32 s2, s24, s18
	s_addc_u32 s3, s25, s19
	s_cmp_eq_u64 s[2:3], 0
	s_cselect_b32 s3, s25, s3
	s_cselect_b32 s2, s24, s2
	s_and_b64 s[18:19], s[2:3], s[22:23]
	s_mul_i32 s19, s19, 24
	s_mul_hi_u32 s22, s18, 24
	s_mul_i32 s18, s18, 24
	s_add_i32 s19, s22, s19
	v_mov_b32_e32 v4, s19
	s_waitcnt vmcnt(0)
	v_add_co_u32_e32 v10, vcc, s18, v6
	v_addc_co_u32_e32 v11, vcc, v7, v4, vcc
	v_mov_b32_e32 v12, s2
	global_store_dwordx2 v[10:11], v[14:15], off
	v_mov_b32_e32 v13, s3
	s_waitcnt vmcnt(0)
	global_atomic_cmpswap_x2 v[6:7], v28, v[12:15], s[10:11] offset:24 glc
	s_waitcnt vmcnt(0)
	v_cmp_ne_u64_e32 vcc, v[6:7], v[14:15]
	s_and_b64 exec, exec, vcc
	s_cbranch_execz .LBB4_34
; %bb.115:                              ;   in Loop: Header=BB4_35 Depth=1
	s_mov_b64 s[18:19], 0
.LBB4_116:                              ;   Parent Loop BB4_35 Depth=1
                                        ; =>  This Inner Loop Header: Depth=2
	s_sleep 1
	global_store_dwordx2 v[10:11], v[6:7], off
	v_mov_b32_e32 v4, s2
	v_mov_b32_e32 v5, s3
	s_waitcnt vmcnt(0)
	global_atomic_cmpswap_x2 v[4:5], v28, v[4:7], s[10:11] offset:24 glc
	s_waitcnt vmcnt(0)
	v_cmp_eq_u64_e32 vcc, v[4:5], v[6:7]
	v_mov_b32_e32 v7, v5
	s_or_b64 s[18:19], vcc, s[18:19]
	v_mov_b32_e32 v6, v4
	s_andn2_b64 exec, exec, s[18:19]
	s_cbranch_execnz .LBB4_116
	s_branch .LBB4_34
.LBB4_117:
	s_branch .LBB4_145
.LBB4_118:
                                        ; implicit-def: $vgpr2_vgpr3
	s_cbranch_execz .LBB4_145
; %bb.119:
	v_readfirstlane_b32 s2, v33
	v_mov_b32_e32 v8, 0
	v_mov_b32_e32 v9, 0
	v_cmp_eq_u32_e64 s[2:3], s2, v33
	s_and_saveexec_b64 s[12:13], s[2:3]
	s_cbranch_execz .LBB4_125
; %bb.120:
	s_waitcnt vmcnt(0)
	v_mov_b32_e32 v2, 0
	global_load_dwordx2 v[5:6], v2, s[10:11] offset:24 glc
	s_waitcnt vmcnt(0)
	buffer_wbinvl1_vol
	global_load_dwordx2 v[3:4], v2, s[10:11] offset:40
	global_load_dwordx2 v[7:8], v2, s[10:11]
	s_waitcnt vmcnt(1)
	v_and_b32_e32 v3, v3, v5
	v_and_b32_e32 v4, v4, v6
	v_mul_lo_u32 v4, v4, 24
	v_mul_hi_u32 v9, v3, 24
	v_mul_lo_u32 v3, v3, 24
	v_add_u32_e32 v4, v9, v4
	s_waitcnt vmcnt(0)
	v_add_co_u32_e32 v3, vcc, v7, v3
	v_addc_co_u32_e32 v4, vcc, v8, v4, vcc
	global_load_dwordx2 v[3:4], v[3:4], off glc
	s_waitcnt vmcnt(0)
	global_atomic_cmpswap_x2 v[8:9], v2, v[3:6], s[10:11] offset:24 glc
	s_waitcnt vmcnt(0)
	buffer_wbinvl1_vol
	v_cmp_ne_u64_e32 vcc, v[8:9], v[5:6]
	s_and_saveexec_b64 s[14:15], vcc
	s_cbranch_execz .LBB4_124
; %bb.121:
	s_mov_b64 s[16:17], 0
.LBB4_122:                              ; =>This Inner Loop Header: Depth=1
	s_sleep 1
	global_load_dwordx2 v[3:4], v2, s[10:11] offset:40
	global_load_dwordx2 v[10:11], v2, s[10:11]
	v_mov_b32_e32 v5, v8
	v_mov_b32_e32 v6, v9
	s_waitcnt vmcnt(1)
	v_and_b32_e32 v3, v3, v5
	s_waitcnt vmcnt(0)
	v_mad_u64_u32 v[7:8], s[18:19], v3, 24, v[10:11]
	v_and_b32_e32 v4, v4, v6
	v_mov_b32_e32 v3, v8
	v_mad_u64_u32 v[3:4], s[18:19], v4, 24, v[3:4]
	v_mov_b32_e32 v8, v3
	global_load_dwordx2 v[3:4], v[7:8], off glc
	s_waitcnt vmcnt(0)
	global_atomic_cmpswap_x2 v[8:9], v2, v[3:6], s[10:11] offset:24 glc
	s_waitcnt vmcnt(0)
	buffer_wbinvl1_vol
	v_cmp_eq_u64_e32 vcc, v[8:9], v[5:6]
	s_or_b64 s[16:17], vcc, s[16:17]
	s_andn2_b64 exec, exec, s[16:17]
	s_cbranch_execnz .LBB4_122
; %bb.123:
	s_or_b64 exec, exec, s[16:17]
.LBB4_124:
	s_or_b64 exec, exec, s[14:15]
.LBB4_125:
	s_or_b64 exec, exec, s[12:13]
	s_waitcnt vmcnt(0)
	v_mov_b32_e32 v2, 0
	global_load_dwordx2 v[10:11], v2, s[10:11] offset:40
	global_load_dwordx4 v[4:7], v2, s[10:11]
	v_readfirstlane_b32 s13, v9
	v_readfirstlane_b32 s12, v8
	s_mov_b64 s[14:15], exec
	s_waitcnt vmcnt(1)
	v_readfirstlane_b32 s16, v10
	v_readfirstlane_b32 s17, v11
	s_and_b64 s[16:17], s[16:17], s[12:13]
	s_mul_i32 s18, s17, 24
	s_mul_hi_u32 s19, s16, 24
	s_mul_i32 s20, s16, 24
	s_add_i32 s18, s19, s18
	v_mov_b32_e32 v3, s18
	s_waitcnt vmcnt(0)
	v_add_co_u32_e32 v8, vcc, s20, v4
	v_addc_co_u32_e32 v9, vcc, v5, v3, vcc
	s_and_saveexec_b64 s[18:19], s[2:3]
	s_cbranch_execz .LBB4_127
; %bb.126:
	v_mov_b32_e32 v10, s14
	v_mov_b32_e32 v11, s15
	;; [unrolled: 1-line block ×4, first 2 shown]
	global_store_dwordx4 v[8:9], v[10:13], off offset:8
.LBB4_127:
	s_or_b64 exec, exec, s[18:19]
	s_lshl_b64 s[14:15], s[16:17], 12
	v_mov_b32_e32 v3, s15
	v_add_co_u32_e32 v10, vcc, s14, v6
	v_addc_co_u32_e32 v11, vcc, v7, v3, vcc
	s_movk_i32 s14, 0xff1f
	v_and_or_b32 v0, v0, s14, 32
	s_mov_b32 s16, 0
	v_mov_b32_e32 v3, v2
	v_readfirstlane_b32 s14, v10
	v_readfirstlane_b32 s15, v11
	v_add_co_u32_e32 v6, vcc, v10, v32
	s_mov_b32 s17, s16
	s_mov_b32 s18, s16
	s_mov_b32 s19, s16
	s_nop 0
	global_store_dwordx4 v32, v[0:3], s[14:15]
	v_addc_co_u32_e32 v7, vcc, 0, v11, vcc
	v_mov_b32_e32 v0, s16
	v_mov_b32_e32 v1, s17
	v_mov_b32_e32 v2, s18
	v_mov_b32_e32 v3, s19
	global_store_dwordx4 v32, v[0:3], s[14:15] offset:16
	global_store_dwordx4 v32, v[0:3], s[14:15] offset:32
	;; [unrolled: 1-line block ×3, first 2 shown]
	s_and_saveexec_b64 s[14:15], s[2:3]
	s_cbranch_execz .LBB4_135
; %bb.128:
	v_mov_b32_e32 v10, 0
	global_load_dwordx2 v[13:14], v10, s[10:11] offset:32 glc
	global_load_dwordx2 v[0:1], v10, s[10:11] offset:40
	v_mov_b32_e32 v11, s12
	v_mov_b32_e32 v12, s13
	s_waitcnt vmcnt(0)
	v_readfirstlane_b32 s16, v0
	v_readfirstlane_b32 s17, v1
	s_and_b64 s[16:17], s[16:17], s[12:13]
	s_mul_i32 s17, s17, 24
	s_mul_hi_u32 s18, s16, 24
	s_mul_i32 s16, s16, 24
	s_add_i32 s17, s18, s17
	v_mov_b32_e32 v0, s17
	v_add_co_u32_e32 v4, vcc, s16, v4
	v_addc_co_u32_e32 v5, vcc, v5, v0, vcc
	global_store_dwordx2 v[4:5], v[13:14], off
	s_waitcnt vmcnt(0)
	global_atomic_cmpswap_x2 v[2:3], v10, v[11:14], s[10:11] offset:32 glc
	s_waitcnt vmcnt(0)
	v_cmp_ne_u64_e32 vcc, v[2:3], v[13:14]
	s_and_saveexec_b64 s[16:17], vcc
	s_cbranch_execz .LBB4_131
; %bb.129:
	s_mov_b64 s[18:19], 0
.LBB4_130:                              ; =>This Inner Loop Header: Depth=1
	s_sleep 1
	global_store_dwordx2 v[4:5], v[2:3], off
	v_mov_b32_e32 v0, s12
	v_mov_b32_e32 v1, s13
	s_waitcnt vmcnt(0)
	global_atomic_cmpswap_x2 v[0:1], v10, v[0:3], s[10:11] offset:32 glc
	s_waitcnt vmcnt(0)
	v_cmp_eq_u64_e32 vcc, v[0:1], v[2:3]
	v_mov_b32_e32 v3, v1
	s_or_b64 s[18:19], vcc, s[18:19]
	v_mov_b32_e32 v2, v0
	s_andn2_b64 exec, exec, s[18:19]
	s_cbranch_execnz .LBB4_130
.LBB4_131:
	s_or_b64 exec, exec, s[16:17]
	v_mov_b32_e32 v3, 0
	global_load_dwordx2 v[0:1], v3, s[10:11] offset:16
	s_mov_b64 s[16:17], exec
	v_mbcnt_lo_u32_b32 v2, s16, 0
	v_mbcnt_hi_u32_b32 v2, s17, v2
	v_cmp_eq_u32_e32 vcc, 0, v2
	s_and_saveexec_b64 s[18:19], vcc
	s_cbranch_execz .LBB4_133
; %bb.132:
	s_bcnt1_i32_b64 s16, s[16:17]
	v_mov_b32_e32 v2, s16
	s_waitcnt vmcnt(0)
	global_atomic_add_x2 v[0:1], v[2:3], off offset:8
.LBB4_133:
	s_or_b64 exec, exec, s[18:19]
	s_waitcnt vmcnt(0)
	global_load_dwordx2 v[2:3], v[0:1], off offset:16
	s_waitcnt vmcnt(0)
	v_cmp_eq_u64_e32 vcc, 0, v[2:3]
	s_cbranch_vccnz .LBB4_135
; %bb.134:
	global_load_dword v0, v[0:1], off offset:24
	v_mov_b32_e32 v1, 0
	s_waitcnt vmcnt(0)
	v_readfirstlane_b32 s16, v0
	s_and_b32 m0, s16, 0xffffff
	global_store_dwordx2 v[2:3], v[0:1], off
	s_sendmsg sendmsg(MSG_INTERRUPT)
.LBB4_135:
	s_or_b64 exec, exec, s[14:15]
	s_branch .LBB4_139
.LBB4_136:                              ;   in Loop: Header=BB4_139 Depth=1
	s_or_b64 exec, exec, s[14:15]
	v_readfirstlane_b32 s14, v0
	s_cmp_eq_u32 s14, 0
	s_cbranch_scc1 .LBB4_138
; %bb.137:                              ;   in Loop: Header=BB4_139 Depth=1
	s_sleep 1
	s_cbranch_execnz .LBB4_139
	s_branch .LBB4_141
.LBB4_138:
	s_branch .LBB4_141
.LBB4_139:                              ; =>This Inner Loop Header: Depth=1
	v_mov_b32_e32 v0, 1
	s_and_saveexec_b64 s[14:15], s[2:3]
	s_cbranch_execz .LBB4_136
; %bb.140:                              ;   in Loop: Header=BB4_139 Depth=1
	global_load_dword v0, v[8:9], off offset:20 glc
	s_waitcnt vmcnt(0)
	buffer_wbinvl1_vol
	v_and_b32_e32 v0, 1, v0
	s_branch .LBB4_136
.LBB4_141:
	global_load_dwordx2 v[2:3], v[6:7], off
	s_and_saveexec_b64 s[14:15], s[2:3]
	s_cbranch_execz .LBB4_144
; %bb.142:
	v_mov_b32_e32 v8, 0
	global_load_dwordx2 v[0:1], v8, s[10:11] offset:40
	global_load_dwordx2 v[11:12], v8, s[10:11] offset:24 glc
	global_load_dwordx2 v[4:5], v8, s[10:11]
	s_waitcnt vmcnt(2)
	v_readfirstlane_b32 s16, v0
	v_readfirstlane_b32 s17, v1
	s_add_u32 s18, s16, 1
	s_addc_u32 s19, s17, 0
	s_add_u32 s2, s18, s12
	s_addc_u32 s3, s19, s13
	s_cmp_eq_u64 s[2:3], 0
	s_cselect_b32 s3, s19, s3
	s_cselect_b32 s2, s18, s2
	s_and_b64 s[12:13], s[2:3], s[16:17]
	s_mul_i32 s13, s13, 24
	s_mul_hi_u32 s16, s12, 24
	s_mul_i32 s12, s12, 24
	s_add_i32 s13, s16, s13
	v_mov_b32_e32 v1, s13
	s_waitcnt vmcnt(0)
	v_add_co_u32_e32 v0, vcc, s12, v4
	v_addc_co_u32_e32 v1, vcc, v5, v1, vcc
	v_mov_b32_e32 v9, s2
	global_store_dwordx2 v[0:1], v[11:12], off
	v_mov_b32_e32 v10, s3
	s_waitcnt vmcnt(0)
	global_atomic_cmpswap_x2 v[6:7], v8, v[9:12], s[10:11] offset:24 glc
	s_mov_b64 s[12:13], 0
	s_waitcnt vmcnt(0)
	v_cmp_ne_u64_e32 vcc, v[6:7], v[11:12]
	s_and_b64 exec, exec, vcc
	s_cbranch_execz .LBB4_144
.LBB4_143:                              ; =>This Inner Loop Header: Depth=1
	s_sleep 1
	global_store_dwordx2 v[0:1], v[6:7], off
	v_mov_b32_e32 v4, s2
	v_mov_b32_e32 v5, s3
	s_waitcnt vmcnt(0)
	global_atomic_cmpswap_x2 v[4:5], v8, v[4:7], s[10:11] offset:24 glc
	s_waitcnt vmcnt(0)
	v_cmp_eq_u64_e32 vcc, v[4:5], v[6:7]
	v_mov_b32_e32 v7, v5
	s_or_b64 s[12:13], vcc, s[12:13]
	v_mov_b32_e32 v6, v4
	s_andn2_b64 exec, exec, s[12:13]
	s_cbranch_execnz .LBB4_143
.LBB4_144:
	s_or_b64 exec, exec, s[14:15]
.LBB4_145:
	v_readfirstlane_b32 s2, v33
	s_waitcnt vmcnt(0)
	v_mov_b32_e32 v0, 0
	v_mov_b32_e32 v1, 0
	v_cmp_eq_u32_e64 s[2:3], s2, v33
	s_and_saveexec_b64 s[12:13], s[2:3]
	s_cbranch_execz .LBB4_151
; %bb.146:
	v_mov_b32_e32 v4, 0
	global_load_dwordx2 v[7:8], v4, s[10:11] offset:24 glc
	s_waitcnt vmcnt(0)
	buffer_wbinvl1_vol
	global_load_dwordx2 v[0:1], v4, s[10:11] offset:40
	global_load_dwordx2 v[5:6], v4, s[10:11]
	s_waitcnt vmcnt(1)
	v_and_b32_e32 v0, v0, v7
	v_and_b32_e32 v1, v1, v8
	v_mul_lo_u32 v1, v1, 24
	v_mul_hi_u32 v9, v0, 24
	v_mul_lo_u32 v0, v0, 24
	v_add_u32_e32 v1, v9, v1
	s_waitcnt vmcnt(0)
	v_add_co_u32_e32 v0, vcc, v5, v0
	v_addc_co_u32_e32 v1, vcc, v6, v1, vcc
	global_load_dwordx2 v[5:6], v[0:1], off glc
	s_waitcnt vmcnt(0)
	global_atomic_cmpswap_x2 v[0:1], v4, v[5:8], s[10:11] offset:24 glc
	s_waitcnt vmcnt(0)
	buffer_wbinvl1_vol
	v_cmp_ne_u64_e32 vcc, v[0:1], v[7:8]
	s_and_saveexec_b64 s[14:15], vcc
	s_cbranch_execz .LBB4_150
; %bb.147:
	s_mov_b64 s[16:17], 0
.LBB4_148:                              ; =>This Inner Loop Header: Depth=1
	s_sleep 1
	global_load_dwordx2 v[5:6], v4, s[10:11] offset:40
	global_load_dwordx2 v[9:10], v4, s[10:11]
	v_mov_b32_e32 v8, v1
	v_mov_b32_e32 v7, v0
	s_waitcnt vmcnt(1)
	v_and_b32_e32 v0, v5, v7
	s_waitcnt vmcnt(0)
	v_mad_u64_u32 v[0:1], s[18:19], v0, 24, v[9:10]
	v_and_b32_e32 v5, v6, v8
	v_mad_u64_u32 v[5:6], s[18:19], v5, 24, v[1:2]
	v_mov_b32_e32 v1, v5
	global_load_dwordx2 v[5:6], v[0:1], off glc
	s_waitcnt vmcnt(0)
	global_atomic_cmpswap_x2 v[0:1], v4, v[5:8], s[10:11] offset:24 glc
	s_waitcnt vmcnt(0)
	buffer_wbinvl1_vol
	v_cmp_eq_u64_e32 vcc, v[0:1], v[7:8]
	s_or_b64 s[16:17], vcc, s[16:17]
	s_andn2_b64 exec, exec, s[16:17]
	s_cbranch_execnz .LBB4_148
; %bb.149:
	s_or_b64 exec, exec, s[16:17]
.LBB4_150:
	s_or_b64 exec, exec, s[14:15]
.LBB4_151:
	s_or_b64 exec, exec, s[12:13]
	v_mov_b32_e32 v5, 0
	global_load_dwordx2 v[10:11], v5, s[10:11] offset:40
	global_load_dwordx4 v[6:9], v5, s[10:11]
	v_readfirstlane_b32 s13, v1
	v_readfirstlane_b32 s12, v0
	s_mov_b64 s[14:15], exec
	s_waitcnt vmcnt(1)
	v_readfirstlane_b32 s16, v10
	v_readfirstlane_b32 s17, v11
	s_and_b64 s[16:17], s[16:17], s[12:13]
	s_mul_i32 s18, s17, 24
	s_mul_hi_u32 s19, s16, 24
	s_mul_i32 s20, s16, 24
	s_add_i32 s18, s19, s18
	v_mov_b32_e32 v0, s18
	s_waitcnt vmcnt(0)
	v_add_co_u32_e32 v10, vcc, s20, v6
	v_addc_co_u32_e32 v11, vcc, v7, v0, vcc
	s_and_saveexec_b64 s[18:19], s[2:3]
	s_cbranch_execz .LBB4_153
; %bb.152:
	v_mov_b32_e32 v12, s14
	v_mov_b32_e32 v13, s15
	;; [unrolled: 1-line block ×4, first 2 shown]
	global_store_dwordx4 v[10:11], v[12:15], off offset:8
.LBB4_153:
	s_or_b64 exec, exec, s[18:19]
	s_lshl_b64 s[14:15], s[16:17], 12
	v_mov_b32_e32 v0, s15
	v_add_co_u32_e32 v1, vcc, s14, v8
	v_addc_co_u32_e32 v0, vcc, v9, v0, vcc
	s_add_i32 s20, s26, -1
	s_movk_i32 s14, 0xff1f
	s_mov_b32 s16, 0
	v_and_or_b32 v2, v2, s14, 32
	v_add_co_u32_e32 v8, vcc, v1, v32
	v_mov_b32_e32 v4, s20
	v_readfirstlane_b32 s14, v1
	v_readfirstlane_b32 s15, v0
	v_addc_co_u32_e32 v9, vcc, 0, v0, vcc
	s_mov_b32 s17, s16
	s_mov_b32 s18, s16
	;; [unrolled: 1-line block ×3, first 2 shown]
	s_nop 0
	global_store_dwordx4 v32, v[2:5], s[14:15]
	v_mov_b32_e32 v0, s16
	v_mov_b32_e32 v1, s17
	;; [unrolled: 1-line block ×4, first 2 shown]
	global_store_dwordx4 v32, v[0:3], s[14:15] offset:16
	global_store_dwordx4 v32, v[0:3], s[14:15] offset:32
	;; [unrolled: 1-line block ×3, first 2 shown]
	s_and_saveexec_b64 s[14:15], s[2:3]
	s_cbranch_execz .LBB4_161
; %bb.154:
	v_mov_b32_e32 v12, 0
	global_load_dwordx2 v[15:16], v12, s[10:11] offset:32 glc
	global_load_dwordx2 v[0:1], v12, s[10:11] offset:40
	v_mov_b32_e32 v13, s12
	v_mov_b32_e32 v14, s13
	s_waitcnt vmcnt(0)
	v_readfirstlane_b32 s16, v0
	v_readfirstlane_b32 s17, v1
	s_and_b64 s[16:17], s[16:17], s[12:13]
	s_mul_i32 s17, s17, 24
	s_mul_hi_u32 s18, s16, 24
	s_mul_i32 s16, s16, 24
	s_add_i32 s17, s18, s17
	v_mov_b32_e32 v0, s17
	v_add_co_u32_e32 v4, vcc, s16, v6
	v_addc_co_u32_e32 v5, vcc, v7, v0, vcc
	global_store_dwordx2 v[4:5], v[15:16], off
	s_waitcnt vmcnt(0)
	global_atomic_cmpswap_x2 v[2:3], v12, v[13:16], s[10:11] offset:32 glc
	s_waitcnt vmcnt(0)
	v_cmp_ne_u64_e32 vcc, v[2:3], v[15:16]
	s_and_saveexec_b64 s[16:17], vcc
	s_cbranch_execz .LBB4_157
; %bb.155:
	s_mov_b64 s[18:19], 0
.LBB4_156:                              ; =>This Inner Loop Header: Depth=1
	s_sleep 1
	global_store_dwordx2 v[4:5], v[2:3], off
	v_mov_b32_e32 v0, s12
	v_mov_b32_e32 v1, s13
	s_waitcnt vmcnt(0)
	global_atomic_cmpswap_x2 v[0:1], v12, v[0:3], s[10:11] offset:32 glc
	s_waitcnt vmcnt(0)
	v_cmp_eq_u64_e32 vcc, v[0:1], v[2:3]
	v_mov_b32_e32 v3, v1
	s_or_b64 s[18:19], vcc, s[18:19]
	v_mov_b32_e32 v2, v0
	s_andn2_b64 exec, exec, s[18:19]
	s_cbranch_execnz .LBB4_156
.LBB4_157:
	s_or_b64 exec, exec, s[16:17]
	v_mov_b32_e32 v3, 0
	global_load_dwordx2 v[0:1], v3, s[10:11] offset:16
	s_mov_b64 s[16:17], exec
	v_mbcnt_lo_u32_b32 v2, s16, 0
	v_mbcnt_hi_u32_b32 v2, s17, v2
	v_cmp_eq_u32_e32 vcc, 0, v2
	s_and_saveexec_b64 s[18:19], vcc
	s_cbranch_execz .LBB4_159
; %bb.158:
	s_bcnt1_i32_b64 s16, s[16:17]
	v_mov_b32_e32 v2, s16
	s_waitcnt vmcnt(0)
	global_atomic_add_x2 v[0:1], v[2:3], off offset:8
.LBB4_159:
	s_or_b64 exec, exec, s[18:19]
	s_waitcnt vmcnt(0)
	global_load_dwordx2 v[2:3], v[0:1], off offset:16
	s_waitcnt vmcnt(0)
	v_cmp_eq_u64_e32 vcc, 0, v[2:3]
	s_cbranch_vccnz .LBB4_161
; %bb.160:
	global_load_dword v0, v[0:1], off offset:24
	v_mov_b32_e32 v1, 0
	s_waitcnt vmcnt(0)
	v_readfirstlane_b32 s16, v0
	s_and_b32 m0, s16, 0xffffff
	global_store_dwordx2 v[2:3], v[0:1], off
	s_sendmsg sendmsg(MSG_INTERRUPT)
.LBB4_161:
	s_or_b64 exec, exec, s[14:15]
	s_branch .LBB4_165
.LBB4_162:                              ;   in Loop: Header=BB4_165 Depth=1
	s_or_b64 exec, exec, s[14:15]
	v_readfirstlane_b32 s14, v0
	s_cmp_eq_u32 s14, 0
	s_cbranch_scc1 .LBB4_164
; %bb.163:                              ;   in Loop: Header=BB4_165 Depth=1
	s_sleep 1
	s_cbranch_execnz .LBB4_165
	s_branch .LBB4_167
.LBB4_164:
	s_branch .LBB4_167
.LBB4_165:                              ; =>This Inner Loop Header: Depth=1
	v_mov_b32_e32 v0, 1
	s_and_saveexec_b64 s[14:15], s[2:3]
	s_cbranch_execz .LBB4_162
; %bb.166:                              ;   in Loop: Header=BB4_165 Depth=1
	global_load_dword v0, v[10:11], off offset:20 glc
	s_waitcnt vmcnt(0)
	buffer_wbinvl1_vol
	v_and_b32_e32 v0, 1, v0
	s_branch .LBB4_162
.LBB4_167:
	global_load_dwordx2 v[0:1], v[8:9], off
	s_and_saveexec_b64 s[14:15], s[2:3]
	s_cbranch_execz .LBB4_170
; %bb.168:
	v_mov_b32_e32 v8, 0
	global_load_dwordx2 v[2:3], v8, s[10:11] offset:40
	global_load_dwordx2 v[11:12], v8, s[10:11] offset:24 glc
	global_load_dwordx2 v[4:5], v8, s[10:11]
	s_waitcnt vmcnt(2)
	v_readfirstlane_b32 s16, v2
	v_readfirstlane_b32 s17, v3
	s_add_u32 s18, s16, 1
	s_addc_u32 s19, s17, 0
	s_add_u32 s2, s18, s12
	s_addc_u32 s3, s19, s13
	s_cmp_eq_u64 s[2:3], 0
	s_cselect_b32 s3, s19, s3
	s_cselect_b32 s2, s18, s2
	s_and_b64 s[12:13], s[2:3], s[16:17]
	s_mul_i32 s13, s13, 24
	s_mul_hi_u32 s16, s12, 24
	s_mul_i32 s12, s12, 24
	s_add_i32 s13, s16, s13
	v_mov_b32_e32 v2, s13
	s_waitcnt vmcnt(0)
	v_add_co_u32_e32 v6, vcc, s12, v4
	v_addc_co_u32_e32 v7, vcc, v5, v2, vcc
	v_mov_b32_e32 v9, s2
	global_store_dwordx2 v[6:7], v[11:12], off
	v_mov_b32_e32 v10, s3
	s_waitcnt vmcnt(0)
	global_atomic_cmpswap_x2 v[4:5], v8, v[9:12], s[10:11] offset:24 glc
	s_mov_b64 s[12:13], 0
	s_waitcnt vmcnt(0)
	v_cmp_ne_u64_e32 vcc, v[4:5], v[11:12]
	s_and_b64 exec, exec, vcc
	s_cbranch_execz .LBB4_170
.LBB4_169:                              ; =>This Inner Loop Header: Depth=1
	s_sleep 1
	global_store_dwordx2 v[6:7], v[4:5], off
	v_mov_b32_e32 v2, s2
	v_mov_b32_e32 v3, s3
	s_waitcnt vmcnt(0)
	global_atomic_cmpswap_x2 v[2:3], v8, v[2:5], s[10:11] offset:24 glc
	s_waitcnt vmcnt(0)
	v_cmp_eq_u64_e32 vcc, v[2:3], v[4:5]
	v_mov_b32_e32 v5, v3
	s_or_b64 s[12:13], vcc, s[12:13]
	v_mov_b32_e32 v4, v2
	s_andn2_b64 exec, exec, s[12:13]
	s_cbranch_execnz .LBB4_169
.LBB4_170:
	s_or_b64 exec, exec, s[14:15]
	v_readfirstlane_b32 s2, v33
	v_mov_b32_e32 v8, 0
	v_mov_b32_e32 v9, 0
	v_cmp_eq_u32_e64 s[2:3], s2, v33
	s_and_saveexec_b64 s[12:13], s[2:3]
	s_cbranch_execz .LBB4_176
; %bb.171:
	v_mov_b32_e32 v2, 0
	global_load_dwordx2 v[5:6], v2, s[10:11] offset:24 glc
	s_waitcnt vmcnt(0)
	buffer_wbinvl1_vol
	global_load_dwordx2 v[3:4], v2, s[10:11] offset:40
	global_load_dwordx2 v[7:8], v2, s[10:11]
	s_waitcnt vmcnt(1)
	v_and_b32_e32 v3, v3, v5
	v_and_b32_e32 v4, v4, v6
	v_mul_lo_u32 v4, v4, 24
	v_mul_hi_u32 v9, v3, 24
	v_mul_lo_u32 v3, v3, 24
	v_add_u32_e32 v4, v9, v4
	s_waitcnt vmcnt(0)
	v_add_co_u32_e32 v3, vcc, v7, v3
	v_addc_co_u32_e32 v4, vcc, v8, v4, vcc
	global_load_dwordx2 v[3:4], v[3:4], off glc
	s_waitcnt vmcnt(0)
	global_atomic_cmpswap_x2 v[8:9], v2, v[3:6], s[10:11] offset:24 glc
	s_waitcnt vmcnt(0)
	buffer_wbinvl1_vol
	v_cmp_ne_u64_e32 vcc, v[8:9], v[5:6]
	s_and_saveexec_b64 s[14:15], vcc
	s_cbranch_execz .LBB4_175
; %bb.172:
	s_mov_b64 s[16:17], 0
.LBB4_173:                              ; =>This Inner Loop Header: Depth=1
	s_sleep 1
	global_load_dwordx2 v[3:4], v2, s[10:11] offset:40
	global_load_dwordx2 v[10:11], v2, s[10:11]
	v_mov_b32_e32 v5, v8
	v_mov_b32_e32 v6, v9
	s_waitcnt vmcnt(1)
	v_and_b32_e32 v3, v3, v5
	s_waitcnt vmcnt(0)
	v_mad_u64_u32 v[7:8], s[18:19], v3, 24, v[10:11]
	v_and_b32_e32 v4, v4, v6
	v_mov_b32_e32 v3, v8
	v_mad_u64_u32 v[3:4], s[18:19], v4, 24, v[3:4]
	v_mov_b32_e32 v8, v3
	global_load_dwordx2 v[3:4], v[7:8], off glc
	s_waitcnt vmcnt(0)
	global_atomic_cmpswap_x2 v[8:9], v2, v[3:6], s[10:11] offset:24 glc
	s_waitcnt vmcnt(0)
	buffer_wbinvl1_vol
	v_cmp_eq_u64_e32 vcc, v[8:9], v[5:6]
	s_or_b64 s[16:17], vcc, s[16:17]
	s_andn2_b64 exec, exec, s[16:17]
	s_cbranch_execnz .LBB4_173
; %bb.174:
	s_or_b64 exec, exec, s[16:17]
.LBB4_175:
	s_or_b64 exec, exec, s[14:15]
.LBB4_176:
	s_or_b64 exec, exec, s[12:13]
	v_mov_b32_e32 v3, 0
	global_load_dwordx2 v[10:11], v3, s[10:11] offset:40
	global_load_dwordx4 v[4:7], v3, s[10:11]
	v_readfirstlane_b32 s13, v9
	v_readfirstlane_b32 s12, v8
	s_mov_b64 s[14:15], exec
	s_waitcnt vmcnt(1)
	v_readfirstlane_b32 s16, v10
	v_readfirstlane_b32 s17, v11
	s_and_b64 s[16:17], s[16:17], s[12:13]
	s_mul_i32 s18, s17, 24
	s_mul_hi_u32 s19, s16, 24
	s_mul_i32 s21, s16, 24
	s_add_i32 s18, s19, s18
	v_mov_b32_e32 v2, s18
	s_waitcnt vmcnt(0)
	v_add_co_u32_e32 v8, vcc, s21, v4
	v_addc_co_u32_e32 v9, vcc, v5, v2, vcc
	s_and_saveexec_b64 s[18:19], s[2:3]
	s_cbranch_execz .LBB4_178
; %bb.177:
	v_mov_b32_e32 v10, s14
	v_mov_b32_e32 v11, s15
	;; [unrolled: 1-line block ×4, first 2 shown]
	global_store_dwordx4 v[8:9], v[10:13], off offset:8
.LBB4_178:
	s_or_b64 exec, exec, s[18:19]
	s_lshl_b64 s[14:15], s[16:17], 12
	v_mov_b32_e32 v2, s15
	v_add_co_u32_e32 v10, vcc, s14, v6
	v_addc_co_u32_e32 v11, vcc, v7, v2, vcc
	v_cndmask_b32_e64 v2, -1, v34, s[0:1]
	s_movk_i32 s0, 0xff1f
	v_and_or_b32 v0, v0, s0, 32
	v_readfirstlane_b32 s0, v10
	v_readfirstlane_b32 s1, v11
	s_mov_b32 s16, 0
	v_add_co_u32_e32 v6, vcc, v10, v32
	s_mov_b32 s17, s16
	s_mov_b32 s18, s16
	s_nop 0
	global_store_dwordx4 v32, v[0:3], s[0:1]
	s_mov_b32 s19, s16
	v_mov_b32_e32 v0, s16
	v_addc_co_u32_e32 v7, vcc, 0, v11, vcc
	v_mov_b32_e32 v1, s17
	v_mov_b32_e32 v2, s18
	;; [unrolled: 1-line block ×3, first 2 shown]
	global_store_dwordx4 v32, v[0:3], s[0:1] offset:16
	global_store_dwordx4 v32, v[0:3], s[0:1] offset:32
	;; [unrolled: 1-line block ×3, first 2 shown]
	s_and_saveexec_b64 s[0:1], s[2:3]
	s_cbranch_execz .LBB4_186
; %bb.179:
	v_mov_b32_e32 v10, 0
	global_load_dwordx2 v[13:14], v10, s[10:11] offset:32 glc
	global_load_dwordx2 v[0:1], v10, s[10:11] offset:40
	v_mov_b32_e32 v11, s12
	v_mov_b32_e32 v12, s13
	s_waitcnt vmcnt(0)
	v_readfirstlane_b32 s14, v0
	v_readfirstlane_b32 s15, v1
	s_and_b64 s[14:15], s[14:15], s[12:13]
	s_mul_i32 s15, s15, 24
	s_mul_hi_u32 s16, s14, 24
	s_mul_i32 s14, s14, 24
	s_add_i32 s15, s16, s15
	v_mov_b32_e32 v0, s15
	v_add_co_u32_e32 v4, vcc, s14, v4
	v_addc_co_u32_e32 v5, vcc, v5, v0, vcc
	global_store_dwordx2 v[4:5], v[13:14], off
	s_waitcnt vmcnt(0)
	global_atomic_cmpswap_x2 v[2:3], v10, v[11:14], s[10:11] offset:32 glc
	s_waitcnt vmcnt(0)
	v_cmp_ne_u64_e32 vcc, v[2:3], v[13:14]
	s_and_saveexec_b64 s[14:15], vcc
	s_cbranch_execz .LBB4_182
; %bb.180:
	s_mov_b64 s[16:17], 0
.LBB4_181:                              ; =>This Inner Loop Header: Depth=1
	s_sleep 1
	global_store_dwordx2 v[4:5], v[2:3], off
	v_mov_b32_e32 v0, s12
	v_mov_b32_e32 v1, s13
	s_waitcnt vmcnt(0)
	global_atomic_cmpswap_x2 v[0:1], v10, v[0:3], s[10:11] offset:32 glc
	s_waitcnt vmcnt(0)
	v_cmp_eq_u64_e32 vcc, v[0:1], v[2:3]
	v_mov_b32_e32 v3, v1
	s_or_b64 s[16:17], vcc, s[16:17]
	v_mov_b32_e32 v2, v0
	s_andn2_b64 exec, exec, s[16:17]
	s_cbranch_execnz .LBB4_181
.LBB4_182:
	s_or_b64 exec, exec, s[14:15]
	v_mov_b32_e32 v3, 0
	global_load_dwordx2 v[0:1], v3, s[10:11] offset:16
	s_mov_b64 s[14:15], exec
	v_mbcnt_lo_u32_b32 v2, s14, 0
	v_mbcnt_hi_u32_b32 v2, s15, v2
	v_cmp_eq_u32_e32 vcc, 0, v2
	s_and_saveexec_b64 s[16:17], vcc
	s_cbranch_execz .LBB4_184
; %bb.183:
	s_bcnt1_i32_b64 s14, s[14:15]
	v_mov_b32_e32 v2, s14
	s_waitcnt vmcnt(0)
	global_atomic_add_x2 v[0:1], v[2:3], off offset:8
.LBB4_184:
	s_or_b64 exec, exec, s[16:17]
	s_waitcnt vmcnt(0)
	global_load_dwordx2 v[2:3], v[0:1], off offset:16
	s_waitcnt vmcnt(0)
	v_cmp_eq_u64_e32 vcc, 0, v[2:3]
	s_cbranch_vccnz .LBB4_186
; %bb.185:
	global_load_dword v0, v[0:1], off offset:24
	v_mov_b32_e32 v1, 0
	s_waitcnt vmcnt(0)
	v_readfirstlane_b32 s14, v0
	s_and_b32 m0, s14, 0xffffff
	global_store_dwordx2 v[2:3], v[0:1], off
	s_sendmsg sendmsg(MSG_INTERRUPT)
.LBB4_186:
	s_or_b64 exec, exec, s[0:1]
	s_branch .LBB4_190
.LBB4_187:                              ;   in Loop: Header=BB4_190 Depth=1
	s_or_b64 exec, exec, s[0:1]
	v_readfirstlane_b32 s0, v0
	s_cmp_eq_u32 s0, 0
	s_cbranch_scc1 .LBB4_189
; %bb.188:                              ;   in Loop: Header=BB4_190 Depth=1
	s_sleep 1
	s_cbranch_execnz .LBB4_190
	s_branch .LBB4_192
.LBB4_189:
	s_branch .LBB4_192
.LBB4_190:                              ; =>This Inner Loop Header: Depth=1
	v_mov_b32_e32 v0, 1
	s_and_saveexec_b64 s[0:1], s[2:3]
	s_cbranch_execz .LBB4_187
; %bb.191:                              ;   in Loop: Header=BB4_190 Depth=1
	global_load_dword v0, v[8:9], off offset:20 glc
	s_waitcnt vmcnt(0)
	buffer_wbinvl1_vol
	v_and_b32_e32 v0, 1, v0
	s_branch .LBB4_187
.LBB4_192:
	global_load_dwordx2 v[0:1], v[6:7], off
	s_and_saveexec_b64 s[0:1], s[2:3]
	s_cbranch_execz .LBB4_195
; %bb.193:
	v_mov_b32_e32 v8, 0
	global_load_dwordx2 v[2:3], v8, s[10:11] offset:40
	global_load_dwordx2 v[11:12], v8, s[10:11] offset:24 glc
	global_load_dwordx2 v[4:5], v8, s[10:11]
	s_waitcnt vmcnt(2)
	v_readfirstlane_b32 s14, v2
	v_readfirstlane_b32 s15, v3
	s_add_u32 s16, s14, 1
	s_addc_u32 s17, s15, 0
	s_add_u32 s2, s16, s12
	s_addc_u32 s3, s17, s13
	s_cmp_eq_u64 s[2:3], 0
	s_cselect_b32 s3, s17, s3
	s_cselect_b32 s2, s16, s2
	s_and_b64 s[12:13], s[2:3], s[14:15]
	s_mul_i32 s13, s13, 24
	s_mul_hi_u32 s14, s12, 24
	s_mul_i32 s12, s12, 24
	s_add_i32 s13, s14, s13
	v_mov_b32_e32 v2, s13
	s_waitcnt vmcnt(0)
	v_add_co_u32_e32 v6, vcc, s12, v4
	v_addc_co_u32_e32 v7, vcc, v5, v2, vcc
	v_mov_b32_e32 v9, s2
	global_store_dwordx2 v[6:7], v[11:12], off
	v_mov_b32_e32 v10, s3
	s_waitcnt vmcnt(0)
	global_atomic_cmpswap_x2 v[4:5], v8, v[9:12], s[10:11] offset:24 glc
	s_mov_b64 s[12:13], 0
	s_waitcnt vmcnt(0)
	v_cmp_ne_u64_e32 vcc, v[4:5], v[11:12]
	s_and_b64 exec, exec, vcc
	s_cbranch_execz .LBB4_195
.LBB4_194:                              ; =>This Inner Loop Header: Depth=1
	s_sleep 1
	global_store_dwordx2 v[6:7], v[4:5], off
	v_mov_b32_e32 v2, s2
	v_mov_b32_e32 v3, s3
	s_waitcnt vmcnt(0)
	global_atomic_cmpswap_x2 v[2:3], v8, v[2:5], s[10:11] offset:24 glc
	s_waitcnt vmcnt(0)
	v_cmp_eq_u64_e32 vcc, v[2:3], v[4:5]
	v_mov_b32_e32 v5, v3
	s_or_b64 s[12:13], vcc, s[12:13]
	v_mov_b32_e32 v4, v2
	s_andn2_b64 exec, exec, s[12:13]
	s_cbranch_execnz .LBB4_194
.LBB4_195:
	s_or_b64 exec, exec, s[0:1]
	v_readfirstlane_b32 s0, v33
	v_mov_b32_e32 v8, 0
	v_mov_b32_e32 v9, 0
	v_cmp_eq_u32_e64 s[0:1], s0, v33
	s_and_saveexec_b64 s[2:3], s[0:1]
	s_cbranch_execz .LBB4_201
; %bb.196:
	v_mov_b32_e32 v2, 0
	global_load_dwordx2 v[5:6], v2, s[10:11] offset:24 glc
	s_waitcnt vmcnt(0)
	buffer_wbinvl1_vol
	global_load_dwordx2 v[3:4], v2, s[10:11] offset:40
	global_load_dwordx2 v[7:8], v2, s[10:11]
	s_waitcnt vmcnt(1)
	v_and_b32_e32 v3, v3, v5
	v_and_b32_e32 v4, v4, v6
	v_mul_lo_u32 v4, v4, 24
	v_mul_hi_u32 v9, v3, 24
	v_mul_lo_u32 v3, v3, 24
	v_add_u32_e32 v4, v9, v4
	s_waitcnt vmcnt(0)
	v_add_co_u32_e32 v3, vcc, v7, v3
	v_addc_co_u32_e32 v4, vcc, v8, v4, vcc
	global_load_dwordx2 v[3:4], v[3:4], off glc
	s_waitcnt vmcnt(0)
	global_atomic_cmpswap_x2 v[8:9], v2, v[3:6], s[10:11] offset:24 glc
	s_waitcnt vmcnt(0)
	buffer_wbinvl1_vol
	v_cmp_ne_u64_e32 vcc, v[8:9], v[5:6]
	s_and_saveexec_b64 s[12:13], vcc
	s_cbranch_execz .LBB4_200
; %bb.197:
	s_mov_b64 s[14:15], 0
.LBB4_198:                              ; =>This Inner Loop Header: Depth=1
	s_sleep 1
	global_load_dwordx2 v[3:4], v2, s[10:11] offset:40
	global_load_dwordx2 v[10:11], v2, s[10:11]
	v_mov_b32_e32 v5, v8
	v_mov_b32_e32 v6, v9
	s_waitcnt vmcnt(1)
	v_and_b32_e32 v3, v3, v5
	s_waitcnt vmcnt(0)
	v_mad_u64_u32 v[7:8], s[16:17], v3, 24, v[10:11]
	v_and_b32_e32 v4, v4, v6
	v_mov_b32_e32 v3, v8
	v_mad_u64_u32 v[3:4], s[16:17], v4, 24, v[3:4]
	v_mov_b32_e32 v8, v3
	global_load_dwordx2 v[3:4], v[7:8], off glc
	s_waitcnt vmcnt(0)
	global_atomic_cmpswap_x2 v[8:9], v2, v[3:6], s[10:11] offset:24 glc
	s_waitcnt vmcnt(0)
	buffer_wbinvl1_vol
	v_cmp_eq_u64_e32 vcc, v[8:9], v[5:6]
	s_or_b64 s[14:15], vcc, s[14:15]
	s_andn2_b64 exec, exec, s[14:15]
	s_cbranch_execnz .LBB4_198
; %bb.199:
	s_or_b64 exec, exec, s[14:15]
.LBB4_200:
	s_or_b64 exec, exec, s[12:13]
.LBB4_201:
	s_or_b64 exec, exec, s[2:3]
	v_mov_b32_e32 v3, 0
	global_load_dwordx2 v[10:11], v3, s[10:11] offset:40
	global_load_dwordx4 v[4:7], v3, s[10:11]
	v_readfirstlane_b32 s3, v9
	v_readfirstlane_b32 s2, v8
	s_mov_b64 s[12:13], exec
	s_waitcnt vmcnt(1)
	v_readfirstlane_b32 s14, v10
	v_readfirstlane_b32 s15, v11
	s_and_b64 s[14:15], s[14:15], s[2:3]
	s_mul_i32 s16, s15, 24
	s_mul_hi_u32 s17, s14, 24
	s_mul_i32 s18, s14, 24
	s_add_i32 s16, s17, s16
	v_mov_b32_e32 v2, s16
	s_waitcnt vmcnt(0)
	v_add_co_u32_e32 v8, vcc, s18, v4
	v_addc_co_u32_e32 v9, vcc, v5, v2, vcc
	s_and_saveexec_b64 s[16:17], s[0:1]
	s_cbranch_execz .LBB4_203
; %bb.202:
	v_mov_b32_e32 v10, s12
	v_mov_b32_e32 v11, s13
	;; [unrolled: 1-line block ×4, first 2 shown]
	global_store_dwordx4 v[8:9], v[10:13], off offset:8
.LBB4_203:
	s_or_b64 exec, exec, s[16:17]
	s_lshl_b64 s[12:13], s[14:15], 12
	v_mov_b32_e32 v2, s13
	v_add_co_u32_e32 v6, vcc, s12, v6
	s_mul_i32 s20, s20, s26
	v_addc_co_u32_e32 v7, vcc, v7, v2, vcc
	s_lshr_b32 s13, s20, 1
	s_movk_i32 s14, 0xff1d
	s_mov_b32 s12, 0
	v_and_or_b32 v0, v0, s14, 34
	v_mov_b32_e32 v2, s13
	v_readfirstlane_b32 s16, v6
	v_readfirstlane_b32 s17, v7
	s_mov_b32 s13, s12
	s_mov_b32 s14, s12
	;; [unrolled: 1-line block ×3, first 2 shown]
	s_nop 1
	global_store_dwordx4 v32, v[0:3], s[16:17]
	s_nop 0
	v_mov_b32_e32 v0, s12
	v_mov_b32_e32 v1, s13
	;; [unrolled: 1-line block ×4, first 2 shown]
	global_store_dwordx4 v32, v[0:3], s[16:17] offset:16
	global_store_dwordx4 v32, v[0:3], s[16:17] offset:32
	;; [unrolled: 1-line block ×3, first 2 shown]
	s_and_saveexec_b64 s[12:13], s[0:1]
	s_cbranch_execz .LBB4_211
; %bb.204:
	v_mov_b32_e32 v6, 0
	global_load_dwordx2 v[12:13], v6, s[10:11] offset:32 glc
	global_load_dwordx2 v[0:1], v6, s[10:11] offset:40
	v_mov_b32_e32 v10, s2
	v_mov_b32_e32 v11, s3
	s_waitcnt vmcnt(0)
	v_readfirstlane_b32 s14, v0
	v_readfirstlane_b32 s15, v1
	s_and_b64 s[14:15], s[14:15], s[2:3]
	s_mul_i32 s15, s15, 24
	s_mul_hi_u32 s16, s14, 24
	s_mul_i32 s14, s14, 24
	s_add_i32 s15, s16, s15
	v_mov_b32_e32 v0, s15
	v_add_co_u32_e32 v4, vcc, s14, v4
	v_addc_co_u32_e32 v5, vcc, v5, v0, vcc
	global_store_dwordx2 v[4:5], v[12:13], off
	s_waitcnt vmcnt(0)
	global_atomic_cmpswap_x2 v[2:3], v6, v[10:13], s[10:11] offset:32 glc
	s_waitcnt vmcnt(0)
	v_cmp_ne_u64_e32 vcc, v[2:3], v[12:13]
	s_and_saveexec_b64 s[14:15], vcc
	s_cbranch_execz .LBB4_207
; %bb.205:
	s_mov_b64 s[16:17], 0
.LBB4_206:                              ; =>This Inner Loop Header: Depth=1
	s_sleep 1
	global_store_dwordx2 v[4:5], v[2:3], off
	v_mov_b32_e32 v0, s2
	v_mov_b32_e32 v1, s3
	s_waitcnt vmcnt(0)
	global_atomic_cmpswap_x2 v[0:1], v6, v[0:3], s[10:11] offset:32 glc
	s_waitcnt vmcnt(0)
	v_cmp_eq_u64_e32 vcc, v[0:1], v[2:3]
	v_mov_b32_e32 v3, v1
	s_or_b64 s[16:17], vcc, s[16:17]
	v_mov_b32_e32 v2, v0
	s_andn2_b64 exec, exec, s[16:17]
	s_cbranch_execnz .LBB4_206
.LBB4_207:
	s_or_b64 exec, exec, s[14:15]
	v_mov_b32_e32 v3, 0
	global_load_dwordx2 v[0:1], v3, s[10:11] offset:16
	s_mov_b64 s[14:15], exec
	v_mbcnt_lo_u32_b32 v2, s14, 0
	v_mbcnt_hi_u32_b32 v2, s15, v2
	v_cmp_eq_u32_e32 vcc, 0, v2
	s_and_saveexec_b64 s[16:17], vcc
	s_cbranch_execz .LBB4_209
; %bb.208:
	s_bcnt1_i32_b64 s14, s[14:15]
	v_mov_b32_e32 v2, s14
	s_waitcnt vmcnt(0)
	global_atomic_add_x2 v[0:1], v[2:3], off offset:8
.LBB4_209:
	s_or_b64 exec, exec, s[16:17]
	s_waitcnt vmcnt(0)
	global_load_dwordx2 v[2:3], v[0:1], off offset:16
	s_waitcnt vmcnt(0)
	v_cmp_eq_u64_e32 vcc, 0, v[2:3]
	s_cbranch_vccnz .LBB4_211
; %bb.210:
	global_load_dword v0, v[0:1], off offset:24
	v_mov_b32_e32 v1, 0
	s_waitcnt vmcnt(0)
	v_readfirstlane_b32 s14, v0
	s_and_b32 m0, s14, 0xffffff
	global_store_dwordx2 v[2:3], v[0:1], off
	s_sendmsg sendmsg(MSG_INTERRUPT)
.LBB4_211:
	s_or_b64 exec, exec, s[12:13]
	s_branch .LBB4_215
.LBB4_212:                              ;   in Loop: Header=BB4_215 Depth=1
	s_or_b64 exec, exec, s[12:13]
	v_readfirstlane_b32 s12, v0
	s_cmp_eq_u32 s12, 0
	s_cbranch_scc1 .LBB4_214
; %bb.213:                              ;   in Loop: Header=BB4_215 Depth=1
	s_sleep 1
	s_cbranch_execnz .LBB4_215
	s_branch .LBB4_217
.LBB4_214:
	s_branch .LBB4_217
.LBB4_215:                              ; =>This Inner Loop Header: Depth=1
	v_mov_b32_e32 v0, 1
	s_and_saveexec_b64 s[12:13], s[0:1]
	s_cbranch_execz .LBB4_212
; %bb.216:                              ;   in Loop: Header=BB4_215 Depth=1
	global_load_dword v0, v[8:9], off offset:20 glc
	s_waitcnt vmcnt(0)
	buffer_wbinvl1_vol
	v_and_b32_e32 v0, 1, v0
	s_branch .LBB4_212
.LBB4_217:
	s_and_saveexec_b64 s[12:13], s[0:1]
	s_cbranch_execz .LBB4_220
; %bb.218:
	v_mov_b32_e32 v6, 0
	global_load_dwordx2 v[0:1], v6, s[10:11] offset:40
	global_load_dwordx2 v[9:10], v6, s[10:11] offset:24 glc
	global_load_dwordx2 v[2:3], v6, s[10:11]
	s_waitcnt vmcnt(2)
	v_readfirstlane_b32 s14, v0
	v_readfirstlane_b32 s15, v1
	s_add_u32 s16, s14, 1
	s_addc_u32 s17, s15, 0
	s_add_u32 s0, s16, s2
	s_addc_u32 s1, s17, s3
	s_cmp_eq_u64 s[0:1], 0
	s_cselect_b32 s1, s17, s1
	s_cselect_b32 s0, s16, s0
	s_and_b64 s[2:3], s[0:1], s[14:15]
	s_mul_i32 s3, s3, 24
	s_mul_hi_u32 s14, s2, 24
	s_mul_i32 s2, s2, 24
	s_add_i32 s3, s14, s3
	v_mov_b32_e32 v0, s3
	s_waitcnt vmcnt(0)
	v_add_co_u32_e32 v4, vcc, s2, v2
	v_addc_co_u32_e32 v5, vcc, v3, v0, vcc
	v_mov_b32_e32 v7, s0
	global_store_dwordx2 v[4:5], v[9:10], off
	v_mov_b32_e32 v8, s1
	s_waitcnt vmcnt(0)
	global_atomic_cmpswap_x2 v[2:3], v6, v[7:10], s[10:11] offset:24 glc
	s_mov_b64 s[2:3], 0
	s_waitcnt vmcnt(0)
	v_cmp_ne_u64_e32 vcc, v[2:3], v[9:10]
	s_and_b64 exec, exec, vcc
	s_cbranch_execz .LBB4_220
.LBB4_219:                              ; =>This Inner Loop Header: Depth=1
	s_sleep 1
	global_store_dwordx2 v[4:5], v[2:3], off
	v_mov_b32_e32 v0, s0
	v_mov_b32_e32 v1, s1
	s_waitcnt vmcnt(0)
	global_atomic_cmpswap_x2 v[0:1], v6, v[0:3], s[10:11] offset:24 glc
	s_waitcnt vmcnt(0)
	v_cmp_eq_u64_e32 vcc, v[0:1], v[2:3]
	v_mov_b32_e32 v3, v1
	s_or_b64 s[2:3], vcc, s[2:3]
	v_mov_b32_e32 v2, v0
	s_andn2_b64 exec, exec, s[2:3]
	s_cbranch_execnz .LBB4_219
.LBB4_220:
	s_or_b64 exec, exec, s[12:13]
	v_readfirstlane_b32 s0, v33
	v_mov_b32_e32 v5, 0
	v_mov_b32_e32 v6, 0
	v_cmp_eq_u32_e64 s[0:1], s0, v33
	s_and_saveexec_b64 s[2:3], s[0:1]
	s_cbranch_execz .LBB4_226
; %bb.221:
	v_mov_b32_e32 v0, 0
	global_load_dwordx2 v[3:4], v0, s[10:11] offset:24 glc
	s_waitcnt vmcnt(0)
	buffer_wbinvl1_vol
	global_load_dwordx2 v[1:2], v0, s[10:11] offset:40
	global_load_dwordx2 v[5:6], v0, s[10:11]
	s_waitcnt vmcnt(1)
	v_and_b32_e32 v1, v1, v3
	v_and_b32_e32 v2, v2, v4
	v_mul_lo_u32 v2, v2, 24
	v_mul_hi_u32 v7, v1, 24
	v_mul_lo_u32 v1, v1, 24
	v_add_u32_e32 v2, v7, v2
	s_waitcnt vmcnt(0)
	v_add_co_u32_e32 v1, vcc, v5, v1
	v_addc_co_u32_e32 v2, vcc, v6, v2, vcc
	global_load_dwordx2 v[1:2], v[1:2], off glc
	s_waitcnt vmcnt(0)
	global_atomic_cmpswap_x2 v[5:6], v0, v[1:4], s[10:11] offset:24 glc
	s_waitcnt vmcnt(0)
	buffer_wbinvl1_vol
	v_cmp_ne_u64_e32 vcc, v[5:6], v[3:4]
	s_and_saveexec_b64 s[12:13], vcc
	s_cbranch_execz .LBB4_225
; %bb.222:
	s_mov_b64 s[14:15], 0
.LBB4_223:                              ; =>This Inner Loop Header: Depth=1
	s_sleep 1
	global_load_dwordx2 v[1:2], v0, s[10:11] offset:40
	global_load_dwordx2 v[7:8], v0, s[10:11]
	v_mov_b32_e32 v3, v5
	v_mov_b32_e32 v4, v6
	s_waitcnt vmcnt(1)
	v_and_b32_e32 v1, v1, v3
	s_waitcnt vmcnt(0)
	v_mad_u64_u32 v[5:6], s[16:17], v1, 24, v[7:8]
	v_and_b32_e32 v2, v2, v4
	v_mov_b32_e32 v1, v6
	v_mad_u64_u32 v[1:2], s[16:17], v2, 24, v[1:2]
	v_mov_b32_e32 v6, v1
	global_load_dwordx2 v[1:2], v[5:6], off glc
	s_waitcnt vmcnt(0)
	global_atomic_cmpswap_x2 v[5:6], v0, v[1:4], s[10:11] offset:24 glc
	s_waitcnt vmcnt(0)
	buffer_wbinvl1_vol
	v_cmp_eq_u64_e32 vcc, v[5:6], v[3:4]
	s_or_b64 s[14:15], vcc, s[14:15]
	s_andn2_b64 exec, exec, s[14:15]
	s_cbranch_execnz .LBB4_223
; %bb.224:
	s_or_b64 exec, exec, s[14:15]
.LBB4_225:
	s_or_b64 exec, exec, s[12:13]
.LBB4_226:
	s_or_b64 exec, exec, s[2:3]
	v_mov_b32_e32 v4, 0
	global_load_dwordx2 v[7:8], v4, s[10:11] offset:40
	global_load_dwordx4 v[0:3], v4, s[10:11]
	v_readfirstlane_b32 s3, v6
	v_readfirstlane_b32 s2, v5
	s_mov_b64 s[12:13], exec
	s_waitcnt vmcnt(1)
	v_readfirstlane_b32 s14, v7
	v_readfirstlane_b32 s15, v8
	s_and_b64 s[14:15], s[14:15], s[2:3]
	s_mul_i32 s16, s15, 24
	s_mul_hi_u32 s17, s14, 24
	s_mul_i32 s18, s14, 24
	s_add_i32 s16, s17, s16
	v_mov_b32_e32 v5, s16
	s_waitcnt vmcnt(0)
	v_add_co_u32_e32 v7, vcc, s18, v0
	v_addc_co_u32_e32 v8, vcc, v1, v5, vcc
	s_and_saveexec_b64 s[16:17], s[0:1]
	s_cbranch_execz .LBB4_228
; %bb.227:
	v_mov_b32_e32 v9, s12
	v_mov_b32_e32 v10, s13
	;; [unrolled: 1-line block ×4, first 2 shown]
	global_store_dwordx4 v[7:8], v[9:12], off offset:8
.LBB4_228:
	s_or_b64 exec, exec, s[16:17]
	s_lshl_b64 s[12:13], s[14:15], 12
	v_mov_b32_e32 v5, s13
	v_add_co_u32_e32 v2, vcc, s12, v2
	v_addc_co_u32_e32 v11, vcc, v3, v5, vcc
	s_mov_b32 s12, 0
	v_mov_b32_e32 v3, 33
	v_mov_b32_e32 v5, v4
	;; [unrolled: 1-line block ×3, first 2 shown]
	v_readfirstlane_b32 s16, v2
	v_readfirstlane_b32 s17, v11
	v_add_co_u32_e32 v9, vcc, v2, v32
	s_mov_b32 s13, s12
	s_mov_b32 s14, s12
	;; [unrolled: 1-line block ×3, first 2 shown]
	s_nop 0
	global_store_dwordx4 v32, v[3:6], s[16:17]
	v_mov_b32_e32 v2, s12
	v_addc_co_u32_e32 v10, vcc, 0, v11, vcc
	v_mov_b32_e32 v3, s13
	v_mov_b32_e32 v4, s14
	;; [unrolled: 1-line block ×3, first 2 shown]
	global_store_dwordx4 v32, v[2:5], s[16:17] offset:16
	global_store_dwordx4 v32, v[2:5], s[16:17] offset:32
	;; [unrolled: 1-line block ×3, first 2 shown]
	s_and_saveexec_b64 s[12:13], s[0:1]
	s_cbranch_execz .LBB4_236
; %bb.229:
	v_mov_b32_e32 v6, 0
	global_load_dwordx2 v[13:14], v6, s[10:11] offset:32 glc
	global_load_dwordx2 v[2:3], v6, s[10:11] offset:40
	v_mov_b32_e32 v11, s2
	v_mov_b32_e32 v12, s3
	s_waitcnt vmcnt(0)
	v_readfirstlane_b32 s14, v2
	v_readfirstlane_b32 s15, v3
	s_and_b64 s[14:15], s[14:15], s[2:3]
	s_mul_i32 s15, s15, 24
	s_mul_hi_u32 s16, s14, 24
	s_mul_i32 s14, s14, 24
	s_add_i32 s15, s16, s15
	v_mov_b32_e32 v2, s15
	v_add_co_u32_e32 v4, vcc, s14, v0
	v_addc_co_u32_e32 v5, vcc, v1, v2, vcc
	global_store_dwordx2 v[4:5], v[13:14], off
	s_waitcnt vmcnt(0)
	global_atomic_cmpswap_x2 v[2:3], v6, v[11:14], s[10:11] offset:32 glc
	s_waitcnt vmcnt(0)
	v_cmp_ne_u64_e32 vcc, v[2:3], v[13:14]
	s_and_saveexec_b64 s[14:15], vcc
	s_cbranch_execz .LBB4_232
; %bb.230:
	s_mov_b64 s[16:17], 0
.LBB4_231:                              ; =>This Inner Loop Header: Depth=1
	s_sleep 1
	global_store_dwordx2 v[4:5], v[2:3], off
	v_mov_b32_e32 v0, s2
	v_mov_b32_e32 v1, s3
	s_waitcnt vmcnt(0)
	global_atomic_cmpswap_x2 v[0:1], v6, v[0:3], s[10:11] offset:32 glc
	s_waitcnt vmcnt(0)
	v_cmp_eq_u64_e32 vcc, v[0:1], v[2:3]
	v_mov_b32_e32 v3, v1
	s_or_b64 s[16:17], vcc, s[16:17]
	v_mov_b32_e32 v2, v0
	s_andn2_b64 exec, exec, s[16:17]
	s_cbranch_execnz .LBB4_231
.LBB4_232:
	s_or_b64 exec, exec, s[14:15]
	v_mov_b32_e32 v3, 0
	global_load_dwordx2 v[0:1], v3, s[10:11] offset:16
	s_mov_b64 s[14:15], exec
	v_mbcnt_lo_u32_b32 v2, s14, 0
	v_mbcnt_hi_u32_b32 v2, s15, v2
	v_cmp_eq_u32_e32 vcc, 0, v2
	s_and_saveexec_b64 s[16:17], vcc
	s_cbranch_execz .LBB4_234
; %bb.233:
	s_bcnt1_i32_b64 s14, s[14:15]
	v_mov_b32_e32 v2, s14
	s_waitcnt vmcnt(0)
	global_atomic_add_x2 v[0:1], v[2:3], off offset:8
.LBB4_234:
	s_or_b64 exec, exec, s[16:17]
	s_waitcnt vmcnt(0)
	global_load_dwordx2 v[2:3], v[0:1], off offset:16
	s_waitcnt vmcnt(0)
	v_cmp_eq_u64_e32 vcc, 0, v[2:3]
	s_cbranch_vccnz .LBB4_236
; %bb.235:
	global_load_dword v0, v[0:1], off offset:24
	v_mov_b32_e32 v1, 0
	s_waitcnt vmcnt(0)
	v_readfirstlane_b32 s14, v0
	s_and_b32 m0, s14, 0xffffff
	global_store_dwordx2 v[2:3], v[0:1], off
	s_sendmsg sendmsg(MSG_INTERRUPT)
.LBB4_236:
	s_or_b64 exec, exec, s[12:13]
	s_branch .LBB4_240
.LBB4_237:                              ;   in Loop: Header=BB4_240 Depth=1
	s_or_b64 exec, exec, s[12:13]
	v_readfirstlane_b32 s12, v0
	s_cmp_eq_u32 s12, 0
	s_cbranch_scc1 .LBB4_239
; %bb.238:                              ;   in Loop: Header=BB4_240 Depth=1
	s_sleep 1
	s_cbranch_execnz .LBB4_240
	s_branch .LBB4_242
.LBB4_239:
	s_branch .LBB4_242
.LBB4_240:                              ; =>This Inner Loop Header: Depth=1
	v_mov_b32_e32 v0, 1
	s_and_saveexec_b64 s[12:13], s[0:1]
	s_cbranch_execz .LBB4_237
; %bb.241:                              ;   in Loop: Header=BB4_240 Depth=1
	global_load_dword v0, v[7:8], off offset:20 glc
	s_waitcnt vmcnt(0)
	buffer_wbinvl1_vol
	v_and_b32_e32 v0, 1, v0
	s_branch .LBB4_237
.LBB4_242:
	global_load_dwordx2 v[0:1], v[9:10], off
	s_and_saveexec_b64 s[12:13], s[0:1]
	s_cbranch_execz .LBB4_245
; %bb.243:
	v_mov_b32_e32 v8, 0
	global_load_dwordx2 v[2:3], v8, s[10:11] offset:40
	global_load_dwordx2 v[11:12], v8, s[10:11] offset:24 glc
	global_load_dwordx2 v[4:5], v8, s[10:11]
	s_waitcnt vmcnt(2)
	v_readfirstlane_b32 s14, v2
	v_readfirstlane_b32 s15, v3
	s_add_u32 s16, s14, 1
	s_addc_u32 s17, s15, 0
	s_add_u32 s0, s16, s2
	s_addc_u32 s1, s17, s3
	s_cmp_eq_u64 s[0:1], 0
	s_cselect_b32 s1, s17, s1
	s_cselect_b32 s0, s16, s0
	s_and_b64 s[2:3], s[0:1], s[14:15]
	s_mul_i32 s3, s3, 24
	s_mul_hi_u32 s14, s2, 24
	s_mul_i32 s2, s2, 24
	s_add_i32 s3, s14, s3
	v_mov_b32_e32 v2, s3
	s_waitcnt vmcnt(0)
	v_add_co_u32_e32 v6, vcc, s2, v4
	v_addc_co_u32_e32 v7, vcc, v5, v2, vcc
	v_mov_b32_e32 v9, s0
	global_store_dwordx2 v[6:7], v[11:12], off
	v_mov_b32_e32 v10, s1
	s_waitcnt vmcnt(0)
	global_atomic_cmpswap_x2 v[4:5], v8, v[9:12], s[10:11] offset:24 glc
	s_mov_b64 s[2:3], 0
	s_waitcnt vmcnt(0)
	v_cmp_ne_u64_e32 vcc, v[4:5], v[11:12]
	s_and_b64 exec, exec, vcc
	s_cbranch_execz .LBB4_245
.LBB4_244:                              ; =>This Inner Loop Header: Depth=1
	s_sleep 1
	global_store_dwordx2 v[6:7], v[4:5], off
	v_mov_b32_e32 v2, s0
	v_mov_b32_e32 v3, s1
	s_waitcnt vmcnt(0)
	global_atomic_cmpswap_x2 v[2:3], v8, v[2:5], s[10:11] offset:24 glc
	s_waitcnt vmcnt(0)
	v_cmp_eq_u64_e32 vcc, v[2:3], v[4:5]
	v_mov_b32_e32 v5, v3
	s_or_b64 s[2:3], vcc, s[2:3]
	v_mov_b32_e32 v4, v2
	s_andn2_b64 exec, exec, s[2:3]
	s_cbranch_execnz .LBB4_244
.LBB4_245:
	s_or_b64 exec, exec, s[12:13]
	s_getpc_b64 s[2:3]
	s_add_u32 s2, s2, .str.1@rel32@lo+4
	s_addc_u32 s3, s3, .str.1@rel32@hi+12
	s_cmp_lg_u64 s[2:3], 0
	s_cbranch_scc0 .LBB4_331
; %bb.246:
	s_waitcnt vmcnt(0)
	v_and_b32_e32 v34, 2, v0
	v_mov_b32_e32 v28, 0
	v_and_b32_e32 v2, -3, v0
	v_mov_b32_e32 v3, v1
	s_mov_b64 s[12:13], 48
	v_mov_b32_e32 v8, 2
	v_mov_b32_e32 v9, 1
	s_branch .LBB4_248
.LBB4_247:                              ;   in Loop: Header=BB4_248 Depth=1
	s_or_b64 exec, exec, s[18:19]
	s_sub_u32 s12, s12, s14
	s_subb_u32 s13, s13, s15
	s_add_u32 s2, s2, s14
	s_addc_u32 s3, s3, s15
	s_cmp_lg_u64 s[12:13], 0
	s_cbranch_scc0 .LBB4_330
.LBB4_248:                              ; =>This Loop Header: Depth=1
                                        ;     Child Loop BB4_251 Depth 2
                                        ;     Child Loop BB4_259 Depth 2
                                        ;     Child Loop BB4_267 Depth 2
                                        ;     Child Loop BB4_275 Depth 2
                                        ;     Child Loop BB4_283 Depth 2
                                        ;     Child Loop BB4_291 Depth 2
                                        ;     Child Loop BB4_299 Depth 2
                                        ;     Child Loop BB4_307 Depth 2
                                        ;     Child Loop BB4_315 Depth 2
                                        ;     Child Loop BB4_324 Depth 2
                                        ;     Child Loop BB4_329 Depth 2
	v_cmp_lt_u64_e64 s[0:1], s[12:13], 56
	v_cmp_gt_u64_e64 s[16:17], s[12:13], 7
	s_and_b64 s[0:1], s[0:1], exec
	s_cselect_b32 s15, s13, 0
	s_cselect_b32 s14, s12, 56
	s_add_u32 s0, s2, 8
	s_addc_u32 s1, s3, 0
	s_and_b64 vcc, exec, s[16:17]
	s_cbranch_vccnz .LBB4_252
; %bb.249:                              ;   in Loop: Header=BB4_248 Depth=1
	s_cmp_eq_u64 s[12:13], 0
	s_cbranch_scc1 .LBB4_253
; %bb.250:                              ;   in Loop: Header=BB4_248 Depth=1
	v_mov_b32_e32 v4, 0
	s_lshl_b64 s[0:1], s[14:15], 3
	s_mov_b64 s[16:17], 0
	v_mov_b32_e32 v5, 0
	s_mov_b64 s[18:19], s[2:3]
.LBB4_251:                              ;   Parent Loop BB4_248 Depth=1
                                        ; =>  This Inner Loop Header: Depth=2
	global_load_ubyte v6, v28, s[18:19]
	s_waitcnt vmcnt(0)
	v_and_b32_e32 v27, 0xffff, v6
	v_lshlrev_b64 v[6:7], s16, v[27:28]
	s_add_u32 s16, s16, 8
	s_addc_u32 s17, s17, 0
	s_add_u32 s18, s18, 1
	s_addc_u32 s19, s19, 0
	v_or_b32_e32 v4, v6, v4
	s_cmp_lg_u32 s0, s16
	v_or_b32_e32 v5, v7, v5
	s_cbranch_scc1 .LBB4_251
	s_branch .LBB4_254
.LBB4_252:                              ;   in Loop: Header=BB4_248 Depth=1
	s_mov_b32 s20, 0
	s_branch .LBB4_255
.LBB4_253:                              ;   in Loop: Header=BB4_248 Depth=1
	v_mov_b32_e32 v4, 0
	v_mov_b32_e32 v5, 0
.LBB4_254:                              ;   in Loop: Header=BB4_248 Depth=1
	s_mov_b64 s[0:1], s[2:3]
	s_mov_b32 s20, 0
	s_cbranch_execnz .LBB4_256
.LBB4_255:                              ;   in Loop: Header=BB4_248 Depth=1
	global_load_dwordx2 v[4:5], v28, s[2:3]
	s_add_i32 s20, s14, -8
.LBB4_256:                              ;   in Loop: Header=BB4_248 Depth=1
	s_add_u32 s16, s0, 8
	s_addc_u32 s17, s1, 0
	s_cmp_gt_u32 s20, 7
	s_cbranch_scc1 .LBB4_260
; %bb.257:                              ;   in Loop: Header=BB4_248 Depth=1
	s_cmp_eq_u32 s20, 0
	s_cbranch_scc1 .LBB4_261
; %bb.258:                              ;   in Loop: Header=BB4_248 Depth=1
	v_mov_b32_e32 v10, 0
	s_mov_b64 s[16:17], 0
	v_mov_b32_e32 v11, 0
	s_mov_b64 s[18:19], 0
.LBB4_259:                              ;   Parent Loop BB4_248 Depth=1
                                        ; =>  This Inner Loop Header: Depth=2
	s_add_u32 s22, s0, s18
	s_addc_u32 s23, s1, s19
	global_load_ubyte v6, v28, s[22:23]
	s_add_u32 s18, s18, 1
	s_addc_u32 s19, s19, 0
	s_waitcnt vmcnt(0)
	v_and_b32_e32 v27, 0xffff, v6
	v_lshlrev_b64 v[6:7], s16, v[27:28]
	s_add_u32 s16, s16, 8
	s_addc_u32 s17, s17, 0
	v_or_b32_e32 v10, v6, v10
	s_cmp_lg_u32 s20, s18
	v_or_b32_e32 v11, v7, v11
	s_cbranch_scc1 .LBB4_259
	s_branch .LBB4_262
.LBB4_260:                              ;   in Loop: Header=BB4_248 Depth=1
                                        ; implicit-def: $vgpr10_vgpr11
	s_mov_b32 s21, 0
	s_branch .LBB4_263
.LBB4_261:                              ;   in Loop: Header=BB4_248 Depth=1
	v_mov_b32_e32 v10, 0
	v_mov_b32_e32 v11, 0
.LBB4_262:                              ;   in Loop: Header=BB4_248 Depth=1
	s_mov_b64 s[16:17], s[0:1]
	s_mov_b32 s21, 0
	s_cbranch_execnz .LBB4_264
.LBB4_263:                              ;   in Loop: Header=BB4_248 Depth=1
	global_load_dwordx2 v[10:11], v28, s[0:1]
	s_add_i32 s21, s20, -8
.LBB4_264:                              ;   in Loop: Header=BB4_248 Depth=1
	s_add_u32 s0, s16, 8
	s_addc_u32 s1, s17, 0
	s_cmp_gt_u32 s21, 7
	s_cbranch_scc1 .LBB4_268
; %bb.265:                              ;   in Loop: Header=BB4_248 Depth=1
	s_cmp_eq_u32 s21, 0
	s_cbranch_scc1 .LBB4_269
; %bb.266:                              ;   in Loop: Header=BB4_248 Depth=1
	v_mov_b32_e32 v12, 0
	s_mov_b64 s[0:1], 0
	v_mov_b32_e32 v13, 0
	s_mov_b64 s[18:19], 0
.LBB4_267:                              ;   Parent Loop BB4_248 Depth=1
                                        ; =>  This Inner Loop Header: Depth=2
	s_add_u32 s22, s16, s18
	s_addc_u32 s23, s17, s19
	global_load_ubyte v6, v28, s[22:23]
	s_add_u32 s18, s18, 1
	s_addc_u32 s19, s19, 0
	s_waitcnt vmcnt(0)
	v_and_b32_e32 v27, 0xffff, v6
	v_lshlrev_b64 v[6:7], s0, v[27:28]
	s_add_u32 s0, s0, 8
	s_addc_u32 s1, s1, 0
	v_or_b32_e32 v12, v6, v12
	s_cmp_lg_u32 s21, s18
	v_or_b32_e32 v13, v7, v13
	s_cbranch_scc1 .LBB4_267
	s_branch .LBB4_270
.LBB4_268:                              ;   in Loop: Header=BB4_248 Depth=1
	s_mov_b32 s20, 0
	s_branch .LBB4_271
.LBB4_269:                              ;   in Loop: Header=BB4_248 Depth=1
	v_mov_b32_e32 v12, 0
	v_mov_b32_e32 v13, 0
.LBB4_270:                              ;   in Loop: Header=BB4_248 Depth=1
	s_mov_b64 s[0:1], s[16:17]
	s_mov_b32 s20, 0
	s_cbranch_execnz .LBB4_272
.LBB4_271:                              ;   in Loop: Header=BB4_248 Depth=1
	global_load_dwordx2 v[12:13], v28, s[16:17]
	s_add_i32 s20, s21, -8
.LBB4_272:                              ;   in Loop: Header=BB4_248 Depth=1
	s_add_u32 s16, s0, 8
	s_addc_u32 s17, s1, 0
	s_cmp_gt_u32 s20, 7
	s_cbranch_scc1 .LBB4_276
; %bb.273:                              ;   in Loop: Header=BB4_248 Depth=1
	s_cmp_eq_u32 s20, 0
	s_cbranch_scc1 .LBB4_277
; %bb.274:                              ;   in Loop: Header=BB4_248 Depth=1
	v_mov_b32_e32 v14, 0
	s_mov_b64 s[16:17], 0
	v_mov_b32_e32 v15, 0
	s_mov_b64 s[18:19], 0
.LBB4_275:                              ;   Parent Loop BB4_248 Depth=1
                                        ; =>  This Inner Loop Header: Depth=2
	s_add_u32 s22, s0, s18
	s_addc_u32 s23, s1, s19
	global_load_ubyte v6, v28, s[22:23]
	s_add_u32 s18, s18, 1
	s_addc_u32 s19, s19, 0
	s_waitcnt vmcnt(0)
	v_and_b32_e32 v27, 0xffff, v6
	v_lshlrev_b64 v[6:7], s16, v[27:28]
	s_add_u32 s16, s16, 8
	s_addc_u32 s17, s17, 0
	v_or_b32_e32 v14, v6, v14
	s_cmp_lg_u32 s20, s18
	v_or_b32_e32 v15, v7, v15
	s_cbranch_scc1 .LBB4_275
	s_branch .LBB4_278
.LBB4_276:                              ;   in Loop: Header=BB4_248 Depth=1
                                        ; implicit-def: $vgpr14_vgpr15
	s_mov_b32 s21, 0
	s_branch .LBB4_279
.LBB4_277:                              ;   in Loop: Header=BB4_248 Depth=1
	v_mov_b32_e32 v14, 0
	v_mov_b32_e32 v15, 0
.LBB4_278:                              ;   in Loop: Header=BB4_248 Depth=1
	s_mov_b64 s[16:17], s[0:1]
	s_mov_b32 s21, 0
	s_cbranch_execnz .LBB4_280
.LBB4_279:                              ;   in Loop: Header=BB4_248 Depth=1
	global_load_dwordx2 v[14:15], v28, s[0:1]
	s_add_i32 s21, s20, -8
.LBB4_280:                              ;   in Loop: Header=BB4_248 Depth=1
	s_add_u32 s0, s16, 8
	s_addc_u32 s1, s17, 0
	s_cmp_gt_u32 s21, 7
	s_cbranch_scc1 .LBB4_284
; %bb.281:                              ;   in Loop: Header=BB4_248 Depth=1
	s_cmp_eq_u32 s21, 0
	s_cbranch_scc1 .LBB4_285
; %bb.282:                              ;   in Loop: Header=BB4_248 Depth=1
	v_mov_b32_e32 v16, 0
	s_mov_b64 s[0:1], 0
	v_mov_b32_e32 v17, 0
	s_mov_b64 s[18:19], 0
.LBB4_283:                              ;   Parent Loop BB4_248 Depth=1
                                        ; =>  This Inner Loop Header: Depth=2
	s_add_u32 s22, s16, s18
	s_addc_u32 s23, s17, s19
	global_load_ubyte v6, v28, s[22:23]
	s_add_u32 s18, s18, 1
	s_addc_u32 s19, s19, 0
	s_waitcnt vmcnt(0)
	v_and_b32_e32 v27, 0xffff, v6
	v_lshlrev_b64 v[6:7], s0, v[27:28]
	s_add_u32 s0, s0, 8
	s_addc_u32 s1, s1, 0
	v_or_b32_e32 v16, v6, v16
	s_cmp_lg_u32 s21, s18
	v_or_b32_e32 v17, v7, v17
	s_cbranch_scc1 .LBB4_283
	s_branch .LBB4_286
.LBB4_284:                              ;   in Loop: Header=BB4_248 Depth=1
	s_mov_b32 s20, 0
	s_branch .LBB4_287
.LBB4_285:                              ;   in Loop: Header=BB4_248 Depth=1
	v_mov_b32_e32 v16, 0
	v_mov_b32_e32 v17, 0
.LBB4_286:                              ;   in Loop: Header=BB4_248 Depth=1
	s_mov_b64 s[0:1], s[16:17]
	s_mov_b32 s20, 0
	s_cbranch_execnz .LBB4_288
.LBB4_287:                              ;   in Loop: Header=BB4_248 Depth=1
	global_load_dwordx2 v[16:17], v28, s[16:17]
	s_add_i32 s20, s21, -8
.LBB4_288:                              ;   in Loop: Header=BB4_248 Depth=1
	s_add_u32 s16, s0, 8
	s_addc_u32 s17, s1, 0
	s_cmp_gt_u32 s20, 7
	s_cbranch_scc1 .LBB4_292
; %bb.289:                              ;   in Loop: Header=BB4_248 Depth=1
	s_cmp_eq_u32 s20, 0
	s_cbranch_scc1 .LBB4_293
; %bb.290:                              ;   in Loop: Header=BB4_248 Depth=1
	v_mov_b32_e32 v18, 0
	s_mov_b64 s[16:17], 0
	v_mov_b32_e32 v19, 0
	s_mov_b64 s[18:19], 0
.LBB4_291:                              ;   Parent Loop BB4_248 Depth=1
                                        ; =>  This Inner Loop Header: Depth=2
	s_add_u32 s22, s0, s18
	s_addc_u32 s23, s1, s19
	global_load_ubyte v6, v28, s[22:23]
	s_add_u32 s18, s18, 1
	s_addc_u32 s19, s19, 0
	s_waitcnt vmcnt(0)
	v_and_b32_e32 v27, 0xffff, v6
	v_lshlrev_b64 v[6:7], s16, v[27:28]
	s_add_u32 s16, s16, 8
	s_addc_u32 s17, s17, 0
	v_or_b32_e32 v18, v6, v18
	s_cmp_lg_u32 s20, s18
	v_or_b32_e32 v19, v7, v19
	s_cbranch_scc1 .LBB4_291
	s_branch .LBB4_294
.LBB4_292:                              ;   in Loop: Header=BB4_248 Depth=1
                                        ; implicit-def: $vgpr18_vgpr19
	s_mov_b32 s21, 0
	s_branch .LBB4_295
.LBB4_293:                              ;   in Loop: Header=BB4_248 Depth=1
	v_mov_b32_e32 v18, 0
	v_mov_b32_e32 v19, 0
.LBB4_294:                              ;   in Loop: Header=BB4_248 Depth=1
	s_mov_b64 s[16:17], s[0:1]
	s_mov_b32 s21, 0
	s_cbranch_execnz .LBB4_296
.LBB4_295:                              ;   in Loop: Header=BB4_248 Depth=1
	global_load_dwordx2 v[18:19], v28, s[0:1]
	s_add_i32 s21, s20, -8
.LBB4_296:                              ;   in Loop: Header=BB4_248 Depth=1
	s_cmp_gt_u32 s21, 7
	s_cbranch_scc1 .LBB4_300
; %bb.297:                              ;   in Loop: Header=BB4_248 Depth=1
	s_cmp_eq_u32 s21, 0
	s_cbranch_scc1 .LBB4_301
; %bb.298:                              ;   in Loop: Header=BB4_248 Depth=1
	v_mov_b32_e32 v20, 0
	s_mov_b64 s[0:1], 0
	v_mov_b32_e32 v21, 0
	s_mov_b64 s[18:19], s[16:17]
.LBB4_299:                              ;   Parent Loop BB4_248 Depth=1
                                        ; =>  This Inner Loop Header: Depth=2
	global_load_ubyte v6, v28, s[18:19]
	s_add_i32 s21, s21, -1
	s_waitcnt vmcnt(0)
	v_and_b32_e32 v27, 0xffff, v6
	v_lshlrev_b64 v[6:7], s0, v[27:28]
	s_add_u32 s0, s0, 8
	s_addc_u32 s1, s1, 0
	s_add_u32 s18, s18, 1
	s_addc_u32 s19, s19, 0
	v_or_b32_e32 v20, v6, v20
	s_cmp_lg_u32 s21, 0
	v_or_b32_e32 v21, v7, v21
	s_cbranch_scc1 .LBB4_299
	s_branch .LBB4_302
.LBB4_300:                              ;   in Loop: Header=BB4_248 Depth=1
	s_branch .LBB4_303
.LBB4_301:                              ;   in Loop: Header=BB4_248 Depth=1
	v_mov_b32_e32 v20, 0
	v_mov_b32_e32 v21, 0
.LBB4_302:                              ;   in Loop: Header=BB4_248 Depth=1
	s_cbranch_execnz .LBB4_304
.LBB4_303:                              ;   in Loop: Header=BB4_248 Depth=1
	global_load_dwordx2 v[20:21], v28, s[16:17]
.LBB4_304:                              ;   in Loop: Header=BB4_248 Depth=1
	v_readfirstlane_b32 s0, v33
	v_mov_b32_e32 v6, 0
	v_mov_b32_e32 v7, 0
	v_cmp_eq_u32_e64 s[0:1], s0, v33
	s_and_saveexec_b64 s[16:17], s[0:1]
	s_cbranch_execz .LBB4_310
; %bb.305:                              ;   in Loop: Header=BB4_248 Depth=1
	global_load_dwordx2 v[24:25], v28, s[10:11] offset:24 glc
	s_waitcnt vmcnt(0)
	buffer_wbinvl1_vol
	global_load_dwordx2 v[6:7], v28, s[10:11] offset:40
	global_load_dwordx2 v[22:23], v28, s[10:11]
	s_waitcnt vmcnt(1)
	v_and_b32_e32 v6, v6, v24
	v_and_b32_e32 v7, v7, v25
	v_mul_lo_u32 v7, v7, 24
	v_mul_hi_u32 v27, v6, 24
	v_mul_lo_u32 v6, v6, 24
	v_add_u32_e32 v7, v27, v7
	s_waitcnt vmcnt(0)
	v_add_co_u32_e32 v6, vcc, v22, v6
	v_addc_co_u32_e32 v7, vcc, v23, v7, vcc
	global_load_dwordx2 v[22:23], v[6:7], off glc
	s_waitcnt vmcnt(0)
	global_atomic_cmpswap_x2 v[6:7], v28, v[22:25], s[10:11] offset:24 glc
	s_waitcnt vmcnt(0)
	buffer_wbinvl1_vol
	v_cmp_ne_u64_e32 vcc, v[6:7], v[24:25]
	s_and_saveexec_b64 s[18:19], vcc
	s_cbranch_execz .LBB4_309
; %bb.306:                              ;   in Loop: Header=BB4_248 Depth=1
	s_mov_b64 s[20:21], 0
.LBB4_307:                              ;   Parent Loop BB4_248 Depth=1
                                        ; =>  This Inner Loop Header: Depth=2
	s_sleep 1
	global_load_dwordx2 v[22:23], v28, s[10:11] offset:40
	global_load_dwordx2 v[29:30], v28, s[10:11]
	v_mov_b32_e32 v25, v7
	v_mov_b32_e32 v24, v6
	s_waitcnt vmcnt(1)
	v_and_b32_e32 v6, v22, v24
	s_waitcnt vmcnt(0)
	v_mad_u64_u32 v[6:7], s[22:23], v6, 24, v[29:30]
	v_and_b32_e32 v22, v23, v25
	v_mad_u64_u32 v[22:23], s[22:23], v22, 24, v[7:8]
	v_mov_b32_e32 v7, v22
	global_load_dwordx2 v[22:23], v[6:7], off glc
	s_waitcnt vmcnt(0)
	global_atomic_cmpswap_x2 v[6:7], v28, v[22:25], s[10:11] offset:24 glc
	s_waitcnt vmcnt(0)
	buffer_wbinvl1_vol
	v_cmp_eq_u64_e32 vcc, v[6:7], v[24:25]
	s_or_b64 s[20:21], vcc, s[20:21]
	s_andn2_b64 exec, exec, s[20:21]
	s_cbranch_execnz .LBB4_307
; %bb.308:                              ;   in Loop: Header=BB4_248 Depth=1
	s_or_b64 exec, exec, s[20:21]
.LBB4_309:                              ;   in Loop: Header=BB4_248 Depth=1
	s_or_b64 exec, exec, s[18:19]
.LBB4_310:                              ;   in Loop: Header=BB4_248 Depth=1
	s_or_b64 exec, exec, s[16:17]
	global_load_dwordx2 v[29:30], v28, s[10:11] offset:40
	global_load_dwordx4 v[22:25], v28, s[10:11]
	v_readfirstlane_b32 s17, v7
	v_readfirstlane_b32 s16, v6
	s_mov_b64 s[18:19], exec
	s_waitcnt vmcnt(1)
	v_readfirstlane_b32 s20, v29
	v_readfirstlane_b32 s21, v30
	s_and_b64 s[20:21], s[20:21], s[16:17]
	s_mul_i32 s22, s21, 24
	s_mul_hi_u32 s23, s20, 24
	s_mul_i32 s24, s20, 24
	s_add_i32 s22, s23, s22
	v_mov_b32_e32 v6, s22
	s_waitcnt vmcnt(0)
	v_add_co_u32_e32 v29, vcc, s24, v22
	v_addc_co_u32_e32 v30, vcc, v23, v6, vcc
	s_and_saveexec_b64 s[22:23], s[0:1]
	s_cbranch_execz .LBB4_312
; %bb.311:                              ;   in Loop: Header=BB4_248 Depth=1
	v_mov_b32_e32 v6, s18
	v_mov_b32_e32 v7, s19
	global_store_dwordx4 v[29:30], v[6:9], off offset:8
.LBB4_312:                              ;   in Loop: Header=BB4_248 Depth=1
	s_or_b64 exec, exec, s[22:23]
	s_lshl_b64 s[18:19], s[20:21], 12
	v_mov_b32_e32 v6, s19
	v_add_co_u32_e32 v24, vcc, s18, v24
	v_addc_co_u32_e32 v25, vcc, v25, v6, vcc
	v_cmp_lt_u64_e64 vcc, s[12:13], 57
	s_lshl_b32 s18, s14, 2
	v_cndmask_b32_e32 v6, 0, v34, vcc
	s_add_i32 s18, s18, 28
	v_and_b32_e32 v2, 0xffffff1f, v2
	s_and_b32 s18, s18, 0x1e0
	v_or_b32_e32 v2, v2, v6
	v_or_b32_e32 v2, s18, v2
	v_readfirstlane_b32 s18, v24
	v_readfirstlane_b32 s19, v25
	s_nop 4
	global_store_dwordx4 v32, v[2:5], s[18:19]
	global_store_dwordx4 v32, v[10:13], s[18:19] offset:16
	global_store_dwordx4 v32, v[14:17], s[18:19] offset:32
	;; [unrolled: 1-line block ×3, first 2 shown]
	s_and_saveexec_b64 s[18:19], s[0:1]
	s_cbranch_execz .LBB4_320
; %bb.313:                              ;   in Loop: Header=BB4_248 Depth=1
	global_load_dwordx2 v[12:13], v28, s[10:11] offset:32 glc
	global_load_dwordx2 v[2:3], v28, s[10:11] offset:40
	v_mov_b32_e32 v10, s16
	v_mov_b32_e32 v11, s17
	s_waitcnt vmcnt(0)
	v_readfirstlane_b32 s20, v2
	v_readfirstlane_b32 s21, v3
	s_and_b64 s[20:21], s[20:21], s[16:17]
	s_mul_i32 s21, s21, 24
	s_mul_hi_u32 s22, s20, 24
	s_mul_i32 s20, s20, 24
	s_add_i32 s21, s22, s21
	v_mov_b32_e32 v2, s21
	v_add_co_u32_e32 v6, vcc, s20, v22
	v_addc_co_u32_e32 v7, vcc, v23, v2, vcc
	global_store_dwordx2 v[6:7], v[12:13], off
	s_waitcnt vmcnt(0)
	global_atomic_cmpswap_x2 v[4:5], v28, v[10:13], s[10:11] offset:32 glc
	s_waitcnt vmcnt(0)
	v_cmp_ne_u64_e32 vcc, v[4:5], v[12:13]
	s_and_saveexec_b64 s[20:21], vcc
	s_cbranch_execz .LBB4_316
; %bb.314:                              ;   in Loop: Header=BB4_248 Depth=1
	s_mov_b64 s[22:23], 0
.LBB4_315:                              ;   Parent Loop BB4_248 Depth=1
                                        ; =>  This Inner Loop Header: Depth=2
	s_sleep 1
	global_store_dwordx2 v[6:7], v[4:5], off
	v_mov_b32_e32 v2, s16
	v_mov_b32_e32 v3, s17
	s_waitcnt vmcnt(0)
	global_atomic_cmpswap_x2 v[2:3], v28, v[2:5], s[10:11] offset:32 glc
	s_waitcnt vmcnt(0)
	v_cmp_eq_u64_e32 vcc, v[2:3], v[4:5]
	v_mov_b32_e32 v5, v3
	s_or_b64 s[22:23], vcc, s[22:23]
	v_mov_b32_e32 v4, v2
	s_andn2_b64 exec, exec, s[22:23]
	s_cbranch_execnz .LBB4_315
.LBB4_316:                              ;   in Loop: Header=BB4_248 Depth=1
	s_or_b64 exec, exec, s[20:21]
	global_load_dwordx2 v[2:3], v28, s[10:11] offset:16
	s_mov_b64 s[22:23], exec
	v_mbcnt_lo_u32_b32 v4, s22, 0
	v_mbcnt_hi_u32_b32 v4, s23, v4
	v_cmp_eq_u32_e32 vcc, 0, v4
	s_and_saveexec_b64 s[20:21], vcc
	s_cbranch_execz .LBB4_318
; %bb.317:                              ;   in Loop: Header=BB4_248 Depth=1
	s_bcnt1_i32_b64 s22, s[22:23]
	v_mov_b32_e32 v27, s22
	s_waitcnt vmcnt(0)
	global_atomic_add_x2 v[2:3], v[27:28], off offset:8
.LBB4_318:                              ;   in Loop: Header=BB4_248 Depth=1
	s_or_b64 exec, exec, s[20:21]
	s_waitcnt vmcnt(0)
	global_load_dwordx2 v[4:5], v[2:3], off offset:16
	s_waitcnt vmcnt(0)
	v_cmp_eq_u64_e32 vcc, 0, v[4:5]
	s_cbranch_vccnz .LBB4_320
; %bb.319:                              ;   in Loop: Header=BB4_248 Depth=1
	global_load_dword v27, v[2:3], off offset:24
	s_waitcnt vmcnt(0)
	v_readfirstlane_b32 s20, v27
	s_and_b32 m0, s20, 0xffffff
	global_store_dwordx2 v[4:5], v[27:28], off
	s_sendmsg sendmsg(MSG_INTERRUPT)
.LBB4_320:                              ;   in Loop: Header=BB4_248 Depth=1
	s_or_b64 exec, exec, s[18:19]
	v_add_co_u32_e32 v2, vcc, v24, v32
	v_addc_co_u32_e32 v3, vcc, 0, v25, vcc
	s_branch .LBB4_324
.LBB4_321:                              ;   in Loop: Header=BB4_324 Depth=2
	s_or_b64 exec, exec, s[18:19]
	v_readfirstlane_b32 s18, v4
	s_cmp_eq_u32 s18, 0
	s_cbranch_scc1 .LBB4_323
; %bb.322:                              ;   in Loop: Header=BB4_324 Depth=2
	s_sleep 1
	s_cbranch_execnz .LBB4_324
	s_branch .LBB4_326
.LBB4_323:                              ;   in Loop: Header=BB4_248 Depth=1
	s_branch .LBB4_326
.LBB4_324:                              ;   Parent Loop BB4_248 Depth=1
                                        ; =>  This Inner Loop Header: Depth=2
	v_mov_b32_e32 v4, 1
	s_and_saveexec_b64 s[18:19], s[0:1]
	s_cbranch_execz .LBB4_321
; %bb.325:                              ;   in Loop: Header=BB4_324 Depth=2
	global_load_dword v4, v[29:30], off offset:20 glc
	s_waitcnt vmcnt(0)
	buffer_wbinvl1_vol
	v_and_b32_e32 v4, 1, v4
	s_branch .LBB4_321
.LBB4_326:                              ;   in Loop: Header=BB4_248 Depth=1
	global_load_dwordx2 v[2:3], v[2:3], off
	s_and_saveexec_b64 s[18:19], s[0:1]
	s_cbranch_execz .LBB4_247
; %bb.327:                              ;   in Loop: Header=BB4_248 Depth=1
	global_load_dwordx2 v[4:5], v28, s[10:11] offset:40
	global_load_dwordx2 v[14:15], v28, s[10:11] offset:24 glc
	global_load_dwordx2 v[6:7], v28, s[10:11]
	s_waitcnt vmcnt(2)
	v_readfirstlane_b32 s20, v4
	v_readfirstlane_b32 s21, v5
	s_add_u32 s22, s20, 1
	s_addc_u32 s23, s21, 0
	s_add_u32 s0, s22, s16
	s_addc_u32 s1, s23, s17
	s_cmp_eq_u64 s[0:1], 0
	s_cselect_b32 s1, s23, s1
	s_cselect_b32 s0, s22, s0
	s_and_b64 s[16:17], s[0:1], s[20:21]
	s_mul_i32 s17, s17, 24
	s_mul_hi_u32 s20, s16, 24
	s_mul_i32 s16, s16, 24
	s_add_i32 s17, s20, s17
	v_mov_b32_e32 v4, s17
	s_waitcnt vmcnt(0)
	v_add_co_u32_e32 v10, vcc, s16, v6
	v_addc_co_u32_e32 v11, vcc, v7, v4, vcc
	v_mov_b32_e32 v12, s0
	global_store_dwordx2 v[10:11], v[14:15], off
	v_mov_b32_e32 v13, s1
	s_waitcnt vmcnt(0)
	global_atomic_cmpswap_x2 v[6:7], v28, v[12:15], s[10:11] offset:24 glc
	s_waitcnt vmcnt(0)
	v_cmp_ne_u64_e32 vcc, v[6:7], v[14:15]
	s_and_b64 exec, exec, vcc
	s_cbranch_execz .LBB4_247
; %bb.328:                              ;   in Loop: Header=BB4_248 Depth=1
	s_mov_b64 s[16:17], 0
.LBB4_329:                              ;   Parent Loop BB4_248 Depth=1
                                        ; =>  This Inner Loop Header: Depth=2
	s_sleep 1
	global_store_dwordx2 v[10:11], v[6:7], off
	v_mov_b32_e32 v4, s0
	v_mov_b32_e32 v5, s1
	s_waitcnt vmcnt(0)
	global_atomic_cmpswap_x2 v[4:5], v28, v[4:7], s[10:11] offset:24 glc
	s_waitcnt vmcnt(0)
	v_cmp_eq_u64_e32 vcc, v[4:5], v[6:7]
	v_mov_b32_e32 v7, v5
	s_or_b64 s[16:17], vcc, s[16:17]
	v_mov_b32_e32 v6, v4
	s_andn2_b64 exec, exec, s[16:17]
	s_cbranch_execnz .LBB4_329
	s_branch .LBB4_247
.LBB4_330:
	s_branch .LBB4_358
.LBB4_331:
                                        ; implicit-def: $vgpr2_vgpr3
	s_cbranch_execz .LBB4_358
; %bb.332:
	v_readfirstlane_b32 s0, v33
	v_mov_b32_e32 v8, 0
	v_mov_b32_e32 v9, 0
	v_cmp_eq_u32_e64 s[0:1], s0, v33
	s_and_saveexec_b64 s[2:3], s[0:1]
	s_cbranch_execz .LBB4_338
; %bb.333:
	s_waitcnt vmcnt(0)
	v_mov_b32_e32 v2, 0
	global_load_dwordx2 v[5:6], v2, s[10:11] offset:24 glc
	s_waitcnt vmcnt(0)
	buffer_wbinvl1_vol
	global_load_dwordx2 v[3:4], v2, s[10:11] offset:40
	global_load_dwordx2 v[7:8], v2, s[10:11]
	s_waitcnt vmcnt(1)
	v_and_b32_e32 v3, v3, v5
	v_and_b32_e32 v4, v4, v6
	v_mul_lo_u32 v4, v4, 24
	v_mul_hi_u32 v9, v3, 24
	v_mul_lo_u32 v3, v3, 24
	v_add_u32_e32 v4, v9, v4
	s_waitcnt vmcnt(0)
	v_add_co_u32_e32 v3, vcc, v7, v3
	v_addc_co_u32_e32 v4, vcc, v8, v4, vcc
	global_load_dwordx2 v[3:4], v[3:4], off glc
	s_waitcnt vmcnt(0)
	global_atomic_cmpswap_x2 v[8:9], v2, v[3:6], s[10:11] offset:24 glc
	s_waitcnt vmcnt(0)
	buffer_wbinvl1_vol
	v_cmp_ne_u64_e32 vcc, v[8:9], v[5:6]
	s_and_saveexec_b64 s[12:13], vcc
	s_cbranch_execz .LBB4_337
; %bb.334:
	s_mov_b64 s[14:15], 0
.LBB4_335:                              ; =>This Inner Loop Header: Depth=1
	s_sleep 1
	global_load_dwordx2 v[3:4], v2, s[10:11] offset:40
	global_load_dwordx2 v[10:11], v2, s[10:11]
	v_mov_b32_e32 v5, v8
	v_mov_b32_e32 v6, v9
	s_waitcnt vmcnt(1)
	v_and_b32_e32 v3, v3, v5
	s_waitcnt vmcnt(0)
	v_mad_u64_u32 v[7:8], s[16:17], v3, 24, v[10:11]
	v_and_b32_e32 v4, v4, v6
	v_mov_b32_e32 v3, v8
	v_mad_u64_u32 v[3:4], s[16:17], v4, 24, v[3:4]
	v_mov_b32_e32 v8, v3
	global_load_dwordx2 v[3:4], v[7:8], off glc
	s_waitcnt vmcnt(0)
	global_atomic_cmpswap_x2 v[8:9], v2, v[3:6], s[10:11] offset:24 glc
	s_waitcnt vmcnt(0)
	buffer_wbinvl1_vol
	v_cmp_eq_u64_e32 vcc, v[8:9], v[5:6]
	s_or_b64 s[14:15], vcc, s[14:15]
	s_andn2_b64 exec, exec, s[14:15]
	s_cbranch_execnz .LBB4_335
; %bb.336:
	s_or_b64 exec, exec, s[14:15]
.LBB4_337:
	s_or_b64 exec, exec, s[12:13]
.LBB4_338:
	s_or_b64 exec, exec, s[2:3]
	s_waitcnt vmcnt(0)
	v_mov_b32_e32 v2, 0
	global_load_dwordx2 v[10:11], v2, s[10:11] offset:40
	global_load_dwordx4 v[4:7], v2, s[10:11]
	v_readfirstlane_b32 s3, v9
	v_readfirstlane_b32 s2, v8
	s_mov_b64 s[12:13], exec
	s_waitcnt vmcnt(1)
	v_readfirstlane_b32 s14, v10
	v_readfirstlane_b32 s15, v11
	s_and_b64 s[14:15], s[14:15], s[2:3]
	s_mul_i32 s16, s15, 24
	s_mul_hi_u32 s17, s14, 24
	s_mul_i32 s18, s14, 24
	s_add_i32 s16, s17, s16
	v_mov_b32_e32 v3, s16
	s_waitcnt vmcnt(0)
	v_add_co_u32_e32 v8, vcc, s18, v4
	v_addc_co_u32_e32 v9, vcc, v5, v3, vcc
	s_and_saveexec_b64 s[16:17], s[0:1]
	s_cbranch_execz .LBB4_340
; %bb.339:
	v_mov_b32_e32 v10, s12
	v_mov_b32_e32 v11, s13
	;; [unrolled: 1-line block ×4, first 2 shown]
	global_store_dwordx4 v[8:9], v[10:13], off offset:8
.LBB4_340:
	s_or_b64 exec, exec, s[16:17]
	s_lshl_b64 s[12:13], s[14:15], 12
	v_mov_b32_e32 v3, s13
	v_add_co_u32_e32 v10, vcc, s12, v6
	v_addc_co_u32_e32 v11, vcc, v7, v3, vcc
	s_movk_i32 s12, 0xff1f
	v_and_or_b32 v0, v0, s12, 32
	s_mov_b32 s12, 0
	v_mov_b32_e32 v3, v2
	v_readfirstlane_b32 s16, v10
	v_readfirstlane_b32 s17, v11
	v_add_co_u32_e32 v6, vcc, v10, v32
	s_mov_b32 s13, s12
	s_mov_b32 s14, s12
	;; [unrolled: 1-line block ×3, first 2 shown]
	s_nop 0
	global_store_dwordx4 v32, v[0:3], s[16:17]
	v_addc_co_u32_e32 v7, vcc, 0, v11, vcc
	v_mov_b32_e32 v0, s12
	v_mov_b32_e32 v1, s13
	v_mov_b32_e32 v2, s14
	v_mov_b32_e32 v3, s15
	global_store_dwordx4 v32, v[0:3], s[16:17] offset:16
	global_store_dwordx4 v32, v[0:3], s[16:17] offset:32
	;; [unrolled: 1-line block ×3, first 2 shown]
	s_and_saveexec_b64 s[12:13], s[0:1]
	s_cbranch_execz .LBB4_348
; %bb.341:
	v_mov_b32_e32 v10, 0
	global_load_dwordx2 v[13:14], v10, s[10:11] offset:32 glc
	global_load_dwordx2 v[0:1], v10, s[10:11] offset:40
	v_mov_b32_e32 v11, s2
	v_mov_b32_e32 v12, s3
	s_waitcnt vmcnt(0)
	v_readfirstlane_b32 s14, v0
	v_readfirstlane_b32 s15, v1
	s_and_b64 s[14:15], s[14:15], s[2:3]
	s_mul_i32 s15, s15, 24
	s_mul_hi_u32 s16, s14, 24
	s_mul_i32 s14, s14, 24
	s_add_i32 s15, s16, s15
	v_mov_b32_e32 v0, s15
	v_add_co_u32_e32 v4, vcc, s14, v4
	v_addc_co_u32_e32 v5, vcc, v5, v0, vcc
	global_store_dwordx2 v[4:5], v[13:14], off
	s_waitcnt vmcnt(0)
	global_atomic_cmpswap_x2 v[2:3], v10, v[11:14], s[10:11] offset:32 glc
	s_waitcnt vmcnt(0)
	v_cmp_ne_u64_e32 vcc, v[2:3], v[13:14]
	s_and_saveexec_b64 s[14:15], vcc
	s_cbranch_execz .LBB4_344
; %bb.342:
	s_mov_b64 s[16:17], 0
.LBB4_343:                              ; =>This Inner Loop Header: Depth=1
	s_sleep 1
	global_store_dwordx2 v[4:5], v[2:3], off
	v_mov_b32_e32 v0, s2
	v_mov_b32_e32 v1, s3
	s_waitcnt vmcnt(0)
	global_atomic_cmpswap_x2 v[0:1], v10, v[0:3], s[10:11] offset:32 glc
	s_waitcnt vmcnt(0)
	v_cmp_eq_u64_e32 vcc, v[0:1], v[2:3]
	v_mov_b32_e32 v3, v1
	s_or_b64 s[16:17], vcc, s[16:17]
	v_mov_b32_e32 v2, v0
	s_andn2_b64 exec, exec, s[16:17]
	s_cbranch_execnz .LBB4_343
.LBB4_344:
	s_or_b64 exec, exec, s[14:15]
	v_mov_b32_e32 v3, 0
	global_load_dwordx2 v[0:1], v3, s[10:11] offset:16
	s_mov_b64 s[14:15], exec
	v_mbcnt_lo_u32_b32 v2, s14, 0
	v_mbcnt_hi_u32_b32 v2, s15, v2
	v_cmp_eq_u32_e32 vcc, 0, v2
	s_and_saveexec_b64 s[16:17], vcc
	s_cbranch_execz .LBB4_346
; %bb.345:
	s_bcnt1_i32_b64 s14, s[14:15]
	v_mov_b32_e32 v2, s14
	s_waitcnt vmcnt(0)
	global_atomic_add_x2 v[0:1], v[2:3], off offset:8
.LBB4_346:
	s_or_b64 exec, exec, s[16:17]
	s_waitcnt vmcnt(0)
	global_load_dwordx2 v[2:3], v[0:1], off offset:16
	s_waitcnt vmcnt(0)
	v_cmp_eq_u64_e32 vcc, 0, v[2:3]
	s_cbranch_vccnz .LBB4_348
; %bb.347:
	global_load_dword v0, v[0:1], off offset:24
	v_mov_b32_e32 v1, 0
	s_waitcnt vmcnt(0)
	v_readfirstlane_b32 s14, v0
	s_and_b32 m0, s14, 0xffffff
	global_store_dwordx2 v[2:3], v[0:1], off
	s_sendmsg sendmsg(MSG_INTERRUPT)
.LBB4_348:
	s_or_b64 exec, exec, s[12:13]
	s_branch .LBB4_352
.LBB4_349:                              ;   in Loop: Header=BB4_352 Depth=1
	s_or_b64 exec, exec, s[12:13]
	v_readfirstlane_b32 s12, v0
	s_cmp_eq_u32 s12, 0
	s_cbranch_scc1 .LBB4_351
; %bb.350:                              ;   in Loop: Header=BB4_352 Depth=1
	s_sleep 1
	s_cbranch_execnz .LBB4_352
	s_branch .LBB4_354
.LBB4_351:
	s_branch .LBB4_354
.LBB4_352:                              ; =>This Inner Loop Header: Depth=1
	v_mov_b32_e32 v0, 1
	s_and_saveexec_b64 s[12:13], s[0:1]
	s_cbranch_execz .LBB4_349
; %bb.353:                              ;   in Loop: Header=BB4_352 Depth=1
	global_load_dword v0, v[8:9], off offset:20 glc
	s_waitcnt vmcnt(0)
	buffer_wbinvl1_vol
	v_and_b32_e32 v0, 1, v0
	s_branch .LBB4_349
.LBB4_354:
	global_load_dwordx2 v[2:3], v[6:7], off
	s_and_saveexec_b64 s[12:13], s[0:1]
	s_cbranch_execz .LBB4_357
; %bb.355:
	v_mov_b32_e32 v8, 0
	global_load_dwordx2 v[0:1], v8, s[10:11] offset:40
	global_load_dwordx2 v[11:12], v8, s[10:11] offset:24 glc
	global_load_dwordx2 v[4:5], v8, s[10:11]
	s_waitcnt vmcnt(2)
	v_readfirstlane_b32 s14, v0
	v_readfirstlane_b32 s15, v1
	s_add_u32 s16, s14, 1
	s_addc_u32 s17, s15, 0
	s_add_u32 s0, s16, s2
	s_addc_u32 s1, s17, s3
	s_cmp_eq_u64 s[0:1], 0
	s_cselect_b32 s1, s17, s1
	s_cselect_b32 s0, s16, s0
	s_and_b64 s[2:3], s[0:1], s[14:15]
	s_mul_i32 s3, s3, 24
	s_mul_hi_u32 s14, s2, 24
	s_mul_i32 s2, s2, 24
	s_add_i32 s3, s14, s3
	v_mov_b32_e32 v1, s3
	s_waitcnt vmcnt(0)
	v_add_co_u32_e32 v0, vcc, s2, v4
	v_addc_co_u32_e32 v1, vcc, v5, v1, vcc
	v_mov_b32_e32 v9, s0
	global_store_dwordx2 v[0:1], v[11:12], off
	v_mov_b32_e32 v10, s1
	s_waitcnt vmcnt(0)
	global_atomic_cmpswap_x2 v[6:7], v8, v[9:12], s[10:11] offset:24 glc
	s_mov_b64 s[2:3], 0
	s_waitcnt vmcnt(0)
	v_cmp_ne_u64_e32 vcc, v[6:7], v[11:12]
	s_and_b64 exec, exec, vcc
	s_cbranch_execz .LBB4_357
.LBB4_356:                              ; =>This Inner Loop Header: Depth=1
	s_sleep 1
	global_store_dwordx2 v[0:1], v[6:7], off
	v_mov_b32_e32 v4, s0
	v_mov_b32_e32 v5, s1
	s_waitcnt vmcnt(0)
	global_atomic_cmpswap_x2 v[4:5], v8, v[4:7], s[10:11] offset:24 glc
	s_waitcnt vmcnt(0)
	v_cmp_eq_u64_e32 vcc, v[4:5], v[6:7]
	v_mov_b32_e32 v7, v5
	s_or_b64 s[2:3], vcc, s[2:3]
	v_mov_b32_e32 v6, v4
	s_andn2_b64 exec, exec, s[2:3]
	s_cbranch_execnz .LBB4_356
.LBB4_357:
	s_or_b64 exec, exec, s[12:13]
.LBB4_358:
	v_readfirstlane_b32 s0, v33
	s_waitcnt vmcnt(0)
	v_mov_b32_e32 v0, 0
	v_mov_b32_e32 v1, 0
	v_cmp_eq_u32_e64 s[0:1], s0, v33
	s_and_saveexec_b64 s[2:3], s[0:1]
	s_cbranch_execz .LBB4_364
; %bb.359:
	v_mov_b32_e32 v4, 0
	global_load_dwordx2 v[7:8], v4, s[10:11] offset:24 glc
	s_waitcnt vmcnt(0)
	buffer_wbinvl1_vol
	global_load_dwordx2 v[0:1], v4, s[10:11] offset:40
	global_load_dwordx2 v[5:6], v4, s[10:11]
	s_waitcnt vmcnt(1)
	v_and_b32_e32 v0, v0, v7
	v_and_b32_e32 v1, v1, v8
	v_mul_lo_u32 v1, v1, 24
	v_mul_hi_u32 v9, v0, 24
	v_mul_lo_u32 v0, v0, 24
	v_add_u32_e32 v1, v9, v1
	s_waitcnt vmcnt(0)
	v_add_co_u32_e32 v0, vcc, v5, v0
	v_addc_co_u32_e32 v1, vcc, v6, v1, vcc
	global_load_dwordx2 v[5:6], v[0:1], off glc
	s_waitcnt vmcnt(0)
	global_atomic_cmpswap_x2 v[0:1], v4, v[5:8], s[10:11] offset:24 glc
	s_waitcnt vmcnt(0)
	buffer_wbinvl1_vol
	v_cmp_ne_u64_e32 vcc, v[0:1], v[7:8]
	s_and_saveexec_b64 s[12:13], vcc
	s_cbranch_execz .LBB4_363
; %bb.360:
	s_mov_b64 s[14:15], 0
.LBB4_361:                              ; =>This Inner Loop Header: Depth=1
	s_sleep 1
	global_load_dwordx2 v[5:6], v4, s[10:11] offset:40
	global_load_dwordx2 v[9:10], v4, s[10:11]
	v_mov_b32_e32 v8, v1
	v_mov_b32_e32 v7, v0
	s_waitcnt vmcnt(1)
	v_and_b32_e32 v0, v5, v7
	s_waitcnt vmcnt(0)
	v_mad_u64_u32 v[0:1], s[16:17], v0, 24, v[9:10]
	v_and_b32_e32 v5, v6, v8
	v_mad_u64_u32 v[5:6], s[16:17], v5, 24, v[1:2]
	v_mov_b32_e32 v1, v5
	global_load_dwordx2 v[5:6], v[0:1], off glc
	s_waitcnt vmcnt(0)
	global_atomic_cmpswap_x2 v[0:1], v4, v[5:8], s[10:11] offset:24 glc
	s_waitcnt vmcnt(0)
	buffer_wbinvl1_vol
	v_cmp_eq_u64_e32 vcc, v[0:1], v[7:8]
	s_or_b64 s[14:15], vcc, s[14:15]
	s_andn2_b64 exec, exec, s[14:15]
	s_cbranch_execnz .LBB4_361
; %bb.362:
	s_or_b64 exec, exec, s[14:15]
.LBB4_363:
	s_or_b64 exec, exec, s[12:13]
.LBB4_364:
	s_or_b64 exec, exec, s[2:3]
	v_mov_b32_e32 v5, 0
	global_load_dwordx2 v[10:11], v5, s[10:11] offset:40
	global_load_dwordx4 v[6:9], v5, s[10:11]
	v_readfirstlane_b32 s3, v1
	v_readfirstlane_b32 s2, v0
	s_mov_b64 s[12:13], exec
	s_waitcnt vmcnt(1)
	v_readfirstlane_b32 s14, v10
	v_readfirstlane_b32 s15, v11
	s_and_b64 s[14:15], s[14:15], s[2:3]
	s_mul_i32 s16, s15, 24
	s_mul_hi_u32 s17, s14, 24
	s_mul_i32 s18, s14, 24
	s_add_i32 s16, s17, s16
	v_mov_b32_e32 v0, s16
	s_waitcnt vmcnt(0)
	v_add_co_u32_e32 v10, vcc, s18, v6
	v_addc_co_u32_e32 v11, vcc, v7, v0, vcc
	s_and_saveexec_b64 s[16:17], s[0:1]
	s_cbranch_execz .LBB4_366
; %bb.365:
	v_mov_b32_e32 v12, s12
	v_mov_b32_e32 v13, s13
	;; [unrolled: 1-line block ×4, first 2 shown]
	global_store_dwordx4 v[10:11], v[12:15], off offset:8
.LBB4_366:
	s_or_b64 exec, exec, s[16:17]
	s_lshl_b64 s[12:13], s[14:15], 12
	v_mov_b32_e32 v0, s13
	v_add_co_u32_e32 v1, vcc, s12, v8
	v_addc_co_u32_e32 v0, vcc, v9, v0, vcc
	s_lshr_b32 s13, s26, 3
	s_movk_i32 s14, 0xff1f
	s_mov_b32 s12, 0
	v_and_or_b32 v2, v2, s14, 32
	v_add_co_u32_e32 v8, vcc, v1, v32
	v_mov_b32_e32 v4, s13
	v_readfirstlane_b32 s16, v1
	v_readfirstlane_b32 s17, v0
	v_addc_co_u32_e32 v9, vcc, 0, v0, vcc
	s_mov_b32 s13, s12
	s_mov_b32 s14, s12
	;; [unrolled: 1-line block ×3, first 2 shown]
	s_nop 0
	global_store_dwordx4 v32, v[2:5], s[16:17]
	v_mov_b32_e32 v0, s12
	v_mov_b32_e32 v1, s13
	;; [unrolled: 1-line block ×4, first 2 shown]
	global_store_dwordx4 v32, v[0:3], s[16:17] offset:16
	global_store_dwordx4 v32, v[0:3], s[16:17] offset:32
	;; [unrolled: 1-line block ×3, first 2 shown]
	s_and_saveexec_b64 s[12:13], s[0:1]
	s_cbranch_execz .LBB4_374
; %bb.367:
	v_mov_b32_e32 v12, 0
	global_load_dwordx2 v[15:16], v12, s[10:11] offset:32 glc
	global_load_dwordx2 v[0:1], v12, s[10:11] offset:40
	v_mov_b32_e32 v13, s2
	v_mov_b32_e32 v14, s3
	s_waitcnt vmcnt(0)
	v_readfirstlane_b32 s14, v0
	v_readfirstlane_b32 s15, v1
	s_and_b64 s[14:15], s[14:15], s[2:3]
	s_mul_i32 s15, s15, 24
	s_mul_hi_u32 s16, s14, 24
	s_mul_i32 s14, s14, 24
	s_add_i32 s15, s16, s15
	v_mov_b32_e32 v0, s15
	v_add_co_u32_e32 v4, vcc, s14, v6
	v_addc_co_u32_e32 v5, vcc, v7, v0, vcc
	global_store_dwordx2 v[4:5], v[15:16], off
	s_waitcnt vmcnt(0)
	global_atomic_cmpswap_x2 v[2:3], v12, v[13:16], s[10:11] offset:32 glc
	s_waitcnt vmcnt(0)
	v_cmp_ne_u64_e32 vcc, v[2:3], v[15:16]
	s_and_saveexec_b64 s[14:15], vcc
	s_cbranch_execz .LBB4_370
; %bb.368:
	s_mov_b64 s[16:17], 0
.LBB4_369:                              ; =>This Inner Loop Header: Depth=1
	s_sleep 1
	global_store_dwordx2 v[4:5], v[2:3], off
	v_mov_b32_e32 v0, s2
	v_mov_b32_e32 v1, s3
	s_waitcnt vmcnt(0)
	global_atomic_cmpswap_x2 v[0:1], v12, v[0:3], s[10:11] offset:32 glc
	s_waitcnt vmcnt(0)
	v_cmp_eq_u64_e32 vcc, v[0:1], v[2:3]
	v_mov_b32_e32 v3, v1
	s_or_b64 s[16:17], vcc, s[16:17]
	v_mov_b32_e32 v2, v0
	s_andn2_b64 exec, exec, s[16:17]
	s_cbranch_execnz .LBB4_369
.LBB4_370:
	s_or_b64 exec, exec, s[14:15]
	v_mov_b32_e32 v3, 0
	global_load_dwordx2 v[0:1], v3, s[10:11] offset:16
	s_mov_b64 s[14:15], exec
	v_mbcnt_lo_u32_b32 v2, s14, 0
	v_mbcnt_hi_u32_b32 v2, s15, v2
	v_cmp_eq_u32_e32 vcc, 0, v2
	s_and_saveexec_b64 s[16:17], vcc
	s_cbranch_execz .LBB4_372
; %bb.371:
	s_bcnt1_i32_b64 s14, s[14:15]
	v_mov_b32_e32 v2, s14
	s_waitcnt vmcnt(0)
	global_atomic_add_x2 v[0:1], v[2:3], off offset:8
.LBB4_372:
	s_or_b64 exec, exec, s[16:17]
	s_waitcnt vmcnt(0)
	global_load_dwordx2 v[2:3], v[0:1], off offset:16
	s_waitcnt vmcnt(0)
	v_cmp_eq_u64_e32 vcc, 0, v[2:3]
	s_cbranch_vccnz .LBB4_374
; %bb.373:
	global_load_dword v0, v[0:1], off offset:24
	v_mov_b32_e32 v1, 0
	s_waitcnt vmcnt(0)
	v_readfirstlane_b32 s14, v0
	s_and_b32 m0, s14, 0xffffff
	global_store_dwordx2 v[2:3], v[0:1], off
	s_sendmsg sendmsg(MSG_INTERRUPT)
.LBB4_374:
	s_or_b64 exec, exec, s[12:13]
	s_branch .LBB4_378
.LBB4_375:                              ;   in Loop: Header=BB4_378 Depth=1
	s_or_b64 exec, exec, s[12:13]
	v_readfirstlane_b32 s12, v0
	s_cmp_eq_u32 s12, 0
	s_cbranch_scc1 .LBB4_377
; %bb.376:                              ;   in Loop: Header=BB4_378 Depth=1
	s_sleep 1
	s_cbranch_execnz .LBB4_378
	s_branch .LBB4_380
.LBB4_377:
	s_branch .LBB4_380
.LBB4_378:                              ; =>This Inner Loop Header: Depth=1
	v_mov_b32_e32 v0, 1
	s_and_saveexec_b64 s[12:13], s[0:1]
	s_cbranch_execz .LBB4_375
; %bb.379:                              ;   in Loop: Header=BB4_378 Depth=1
	global_load_dword v0, v[10:11], off offset:20 glc
	s_waitcnt vmcnt(0)
	buffer_wbinvl1_vol
	v_and_b32_e32 v0, 1, v0
	s_branch .LBB4_375
.LBB4_380:
	global_load_dwordx2 v[0:1], v[8:9], off
	s_and_saveexec_b64 s[12:13], s[0:1]
	s_cbranch_execz .LBB4_383
; %bb.381:
	v_mov_b32_e32 v8, 0
	global_load_dwordx2 v[2:3], v8, s[10:11] offset:40
	global_load_dwordx2 v[11:12], v8, s[10:11] offset:24 glc
	global_load_dwordx2 v[4:5], v8, s[10:11]
	s_waitcnt vmcnt(2)
	v_readfirstlane_b32 s14, v2
	v_readfirstlane_b32 s15, v3
	s_add_u32 s16, s14, 1
	s_addc_u32 s17, s15, 0
	s_add_u32 s0, s16, s2
	s_addc_u32 s1, s17, s3
	s_cmp_eq_u64 s[0:1], 0
	s_cselect_b32 s1, s17, s1
	s_cselect_b32 s0, s16, s0
	s_and_b64 s[2:3], s[0:1], s[14:15]
	s_mul_i32 s3, s3, 24
	s_mul_hi_u32 s14, s2, 24
	s_mul_i32 s2, s2, 24
	s_add_i32 s3, s14, s3
	v_mov_b32_e32 v2, s3
	s_waitcnt vmcnt(0)
	v_add_co_u32_e32 v6, vcc, s2, v4
	v_addc_co_u32_e32 v7, vcc, v5, v2, vcc
	v_mov_b32_e32 v9, s0
	global_store_dwordx2 v[6:7], v[11:12], off
	v_mov_b32_e32 v10, s1
	s_waitcnt vmcnt(0)
	global_atomic_cmpswap_x2 v[4:5], v8, v[9:12], s[10:11] offset:24 glc
	s_mov_b64 s[2:3], 0
	s_waitcnt vmcnt(0)
	v_cmp_ne_u64_e32 vcc, v[4:5], v[11:12]
	s_and_b64 exec, exec, vcc
	s_cbranch_execz .LBB4_383
.LBB4_382:                              ; =>This Inner Loop Header: Depth=1
	s_sleep 1
	global_store_dwordx2 v[6:7], v[4:5], off
	v_mov_b32_e32 v2, s0
	v_mov_b32_e32 v3, s1
	s_waitcnt vmcnt(0)
	global_atomic_cmpswap_x2 v[2:3], v8, v[2:5], s[10:11] offset:24 glc
	s_waitcnt vmcnt(0)
	v_cmp_eq_u64_e32 vcc, v[2:3], v[4:5]
	v_mov_b32_e32 v5, v3
	s_or_b64 s[2:3], vcc, s[2:3]
	v_mov_b32_e32 v4, v2
	s_andn2_b64 exec, exec, s[2:3]
	s_cbranch_execnz .LBB4_382
.LBB4_383:
	s_or_b64 exec, exec, s[12:13]
	v_readfirstlane_b32 s0, v33
	v_mov_b32_e32 v8, 0
	v_mov_b32_e32 v9, 0
	v_cmp_eq_u32_e64 s[0:1], s0, v33
	s_and_saveexec_b64 s[2:3], s[0:1]
	s_cbranch_execz .LBB4_389
; %bb.384:
	v_mov_b32_e32 v2, 0
	global_load_dwordx2 v[5:6], v2, s[10:11] offset:24 glc
	s_waitcnt vmcnt(0)
	buffer_wbinvl1_vol
	global_load_dwordx2 v[3:4], v2, s[10:11] offset:40
	global_load_dwordx2 v[7:8], v2, s[10:11]
	s_waitcnt vmcnt(1)
	v_and_b32_e32 v3, v3, v5
	v_and_b32_e32 v4, v4, v6
	v_mul_lo_u32 v4, v4, 24
	v_mul_hi_u32 v9, v3, 24
	v_mul_lo_u32 v3, v3, 24
	v_add_u32_e32 v4, v9, v4
	s_waitcnt vmcnt(0)
	v_add_co_u32_e32 v3, vcc, v7, v3
	v_addc_co_u32_e32 v4, vcc, v8, v4, vcc
	global_load_dwordx2 v[3:4], v[3:4], off glc
	s_waitcnt vmcnt(0)
	global_atomic_cmpswap_x2 v[8:9], v2, v[3:6], s[10:11] offset:24 glc
	s_waitcnt vmcnt(0)
	buffer_wbinvl1_vol
	v_cmp_ne_u64_e32 vcc, v[8:9], v[5:6]
	s_and_saveexec_b64 s[12:13], vcc
	s_cbranch_execz .LBB4_388
; %bb.385:
	s_mov_b64 s[14:15], 0
.LBB4_386:                              ; =>This Inner Loop Header: Depth=1
	s_sleep 1
	global_load_dwordx2 v[3:4], v2, s[10:11] offset:40
	global_load_dwordx2 v[10:11], v2, s[10:11]
	v_mov_b32_e32 v5, v8
	v_mov_b32_e32 v6, v9
	s_waitcnt vmcnt(1)
	v_and_b32_e32 v3, v3, v5
	s_waitcnt vmcnt(0)
	v_mad_u64_u32 v[7:8], s[16:17], v3, 24, v[10:11]
	v_and_b32_e32 v4, v4, v6
	v_mov_b32_e32 v3, v8
	v_mad_u64_u32 v[3:4], s[16:17], v4, 24, v[3:4]
	v_mov_b32_e32 v8, v3
	global_load_dwordx2 v[3:4], v[7:8], off glc
	s_waitcnt vmcnt(0)
	global_atomic_cmpswap_x2 v[8:9], v2, v[3:6], s[10:11] offset:24 glc
	s_waitcnt vmcnt(0)
	buffer_wbinvl1_vol
	v_cmp_eq_u64_e32 vcc, v[8:9], v[5:6]
	s_or_b64 s[14:15], vcc, s[14:15]
	s_andn2_b64 exec, exec, s[14:15]
	s_cbranch_execnz .LBB4_386
; %bb.387:
	s_or_b64 exec, exec, s[14:15]
.LBB4_388:
	s_or_b64 exec, exec, s[12:13]
.LBB4_389:
	s_or_b64 exec, exec, s[2:3]
	v_mov_b32_e32 v3, 0
	global_load_dwordx2 v[10:11], v3, s[10:11] offset:40
	global_load_dwordx4 v[4:7], v3, s[10:11]
	v_readfirstlane_b32 s3, v9
	v_readfirstlane_b32 s2, v8
	s_mov_b64 s[12:13], exec
	s_waitcnt vmcnt(1)
	v_readfirstlane_b32 s14, v10
	v_readfirstlane_b32 s15, v11
	s_and_b64 s[14:15], s[14:15], s[2:3]
	s_mul_i32 s16, s15, 24
	s_mul_hi_u32 s17, s14, 24
	s_mul_i32 s18, s14, 24
	s_add_i32 s16, s17, s16
	v_mov_b32_e32 v2, s16
	s_waitcnt vmcnt(0)
	v_add_co_u32_e32 v8, vcc, s18, v4
	v_addc_co_u32_e32 v9, vcc, v5, v2, vcc
	s_and_saveexec_b64 s[16:17], s[0:1]
	s_cbranch_execz .LBB4_391
; %bb.390:
	v_mov_b32_e32 v10, s12
	v_mov_b32_e32 v11, s13
	;; [unrolled: 1-line block ×4, first 2 shown]
	global_store_dwordx4 v[8:9], v[10:13], off offset:8
.LBB4_391:
	s_or_b64 exec, exec, s[16:17]
	s_lshl_b64 s[12:13], s[14:15], 12
	v_mov_b32_e32 v2, s13
	v_add_co_u32_e32 v6, vcc, s12, v6
	v_addc_co_u32_e32 v7, vcc, v7, v2, vcc
	s_movk_i32 s12, 0xff1d
	v_and_or_b32 v0, v0, s12, 34
	s_mov_b32 s12, 0
	v_mov_b32_e32 v2, 8
	v_readfirstlane_b32 s16, v6
	v_readfirstlane_b32 s17, v7
	s_mov_b32 s13, s12
	s_mov_b32 s14, s12
	;; [unrolled: 1-line block ×3, first 2 shown]
	s_nop 1
	global_store_dwordx4 v32, v[0:3], s[16:17]
	s_nop 0
	v_mov_b32_e32 v0, s12
	v_mov_b32_e32 v1, s13
	v_mov_b32_e32 v2, s14
	v_mov_b32_e32 v3, s15
	global_store_dwordx4 v32, v[0:3], s[16:17] offset:16
	global_store_dwordx4 v32, v[0:3], s[16:17] offset:32
	;; [unrolled: 1-line block ×3, first 2 shown]
	s_and_saveexec_b64 s[12:13], s[0:1]
	s_cbranch_execz .LBB4_399
; %bb.392:
	v_mov_b32_e32 v6, 0
	global_load_dwordx2 v[12:13], v6, s[10:11] offset:32 glc
	global_load_dwordx2 v[0:1], v6, s[10:11] offset:40
	v_mov_b32_e32 v10, s2
	v_mov_b32_e32 v11, s3
	s_waitcnt vmcnt(0)
	v_readfirstlane_b32 s14, v0
	v_readfirstlane_b32 s15, v1
	s_and_b64 s[14:15], s[14:15], s[2:3]
	s_mul_i32 s15, s15, 24
	s_mul_hi_u32 s16, s14, 24
	s_mul_i32 s14, s14, 24
	s_add_i32 s15, s16, s15
	v_mov_b32_e32 v0, s15
	v_add_co_u32_e32 v4, vcc, s14, v4
	v_addc_co_u32_e32 v5, vcc, v5, v0, vcc
	global_store_dwordx2 v[4:5], v[12:13], off
	s_waitcnt vmcnt(0)
	global_atomic_cmpswap_x2 v[2:3], v6, v[10:13], s[10:11] offset:32 glc
	s_waitcnt vmcnt(0)
	v_cmp_ne_u64_e32 vcc, v[2:3], v[12:13]
	s_and_saveexec_b64 s[14:15], vcc
	s_cbranch_execz .LBB4_395
; %bb.393:
	s_mov_b64 s[16:17], 0
.LBB4_394:                              ; =>This Inner Loop Header: Depth=1
	s_sleep 1
	global_store_dwordx2 v[4:5], v[2:3], off
	v_mov_b32_e32 v0, s2
	v_mov_b32_e32 v1, s3
	s_waitcnt vmcnt(0)
	global_atomic_cmpswap_x2 v[0:1], v6, v[0:3], s[10:11] offset:32 glc
	s_waitcnt vmcnt(0)
	v_cmp_eq_u64_e32 vcc, v[0:1], v[2:3]
	v_mov_b32_e32 v3, v1
	s_or_b64 s[16:17], vcc, s[16:17]
	v_mov_b32_e32 v2, v0
	s_andn2_b64 exec, exec, s[16:17]
	s_cbranch_execnz .LBB4_394
.LBB4_395:
	s_or_b64 exec, exec, s[14:15]
	v_mov_b32_e32 v3, 0
	global_load_dwordx2 v[0:1], v3, s[10:11] offset:16
	s_mov_b64 s[14:15], exec
	v_mbcnt_lo_u32_b32 v2, s14, 0
	v_mbcnt_hi_u32_b32 v2, s15, v2
	v_cmp_eq_u32_e32 vcc, 0, v2
	s_and_saveexec_b64 s[16:17], vcc
	s_cbranch_execz .LBB4_397
; %bb.396:
	s_bcnt1_i32_b64 s14, s[14:15]
	v_mov_b32_e32 v2, s14
	s_waitcnt vmcnt(0)
	global_atomic_add_x2 v[0:1], v[2:3], off offset:8
.LBB4_397:
	s_or_b64 exec, exec, s[16:17]
	s_waitcnt vmcnt(0)
	global_load_dwordx2 v[2:3], v[0:1], off offset:16
	s_waitcnt vmcnt(0)
	v_cmp_eq_u64_e32 vcc, 0, v[2:3]
	s_cbranch_vccnz .LBB4_399
; %bb.398:
	global_load_dword v0, v[0:1], off offset:24
	v_mov_b32_e32 v1, 0
	s_waitcnt vmcnt(0)
	v_readfirstlane_b32 s14, v0
	s_and_b32 m0, s14, 0xffffff
	global_store_dwordx2 v[2:3], v[0:1], off
	s_sendmsg sendmsg(MSG_INTERRUPT)
.LBB4_399:
	s_or_b64 exec, exec, s[12:13]
	s_branch .LBB4_403
.LBB4_400:                              ;   in Loop: Header=BB4_403 Depth=1
	s_or_b64 exec, exec, s[12:13]
	v_readfirstlane_b32 s12, v0
	s_cmp_eq_u32 s12, 0
	s_cbranch_scc1 .LBB4_402
; %bb.401:                              ;   in Loop: Header=BB4_403 Depth=1
	s_sleep 1
	s_cbranch_execnz .LBB4_403
	s_branch .LBB4_405
.LBB4_402:
	s_branch .LBB4_405
.LBB4_403:                              ; =>This Inner Loop Header: Depth=1
	v_mov_b32_e32 v0, 1
	s_and_saveexec_b64 s[12:13], s[0:1]
	s_cbranch_execz .LBB4_400
; %bb.404:                              ;   in Loop: Header=BB4_403 Depth=1
	global_load_dword v0, v[8:9], off offset:20 glc
	s_waitcnt vmcnt(0)
	buffer_wbinvl1_vol
	v_and_b32_e32 v0, 1, v0
	s_branch .LBB4_400
.LBB4_405:
	s_and_b64 exec, exec, s[0:1]
	s_cbranch_execz .LBB4_408
; %bb.406:
	v_mov_b32_e32 v6, 0
	global_load_dwordx2 v[0:1], v6, s[10:11] offset:40
	global_load_dwordx2 v[9:10], v6, s[10:11] offset:24 glc
	global_load_dwordx2 v[2:3], v6, s[10:11]
	s_waitcnt vmcnt(2)
	v_readfirstlane_b32 s12, v0
	v_readfirstlane_b32 s13, v1
	s_add_u32 s14, s12, 1
	s_addc_u32 s15, s13, 0
	s_add_u32 s0, s14, s2
	s_addc_u32 s1, s15, s3
	s_cmp_eq_u64 s[0:1], 0
	s_cselect_b32 s1, s15, s1
	s_cselect_b32 s0, s14, s0
	s_and_b64 s[2:3], s[0:1], s[12:13]
	s_mul_i32 s3, s3, 24
	s_mul_hi_u32 s12, s2, 24
	s_mul_i32 s2, s2, 24
	s_add_i32 s3, s12, s3
	v_mov_b32_e32 v0, s3
	s_waitcnt vmcnt(0)
	v_add_co_u32_e32 v4, vcc, s2, v2
	v_addc_co_u32_e32 v5, vcc, v3, v0, vcc
	v_mov_b32_e32 v7, s0
	global_store_dwordx2 v[4:5], v[9:10], off
	v_mov_b32_e32 v8, s1
	s_waitcnt vmcnt(0)
	global_atomic_cmpswap_x2 v[2:3], v6, v[7:10], s[10:11] offset:24 glc
	s_mov_b64 s[2:3], 0
	s_waitcnt vmcnt(0)
	v_cmp_ne_u64_e32 vcc, v[2:3], v[9:10]
	s_and_b64 exec, exec, vcc
	s_cbranch_execz .LBB4_408
.LBB4_407:                              ; =>This Inner Loop Header: Depth=1
	s_sleep 1
	global_store_dwordx2 v[4:5], v[2:3], off
	v_mov_b32_e32 v0, s0
	v_mov_b32_e32 v1, s1
	s_waitcnt vmcnt(0)
	global_atomic_cmpswap_x2 v[0:1], v6, v[0:3], s[10:11] offset:24 glc
	s_waitcnt vmcnt(0)
	v_cmp_eq_u64_e32 vcc, v[0:1], v[2:3]
	v_mov_b32_e32 v3, v1
	s_or_b64 s[2:3], vcc, s[2:3]
	v_mov_b32_e32 v2, v0
	s_andn2_b64 exec, exec, s[2:3]
	s_cbranch_execnz .LBB4_407
.LBB4_408:
	s_or_b64 exec, exec, s[8:9]
	v_and_b32_e32 v0, -8, v26
	v_ashrrev_i32_e32 v1, 31, v0
	v_lshlrev_b64 v[0:1], 2, v[0:1]
	v_mov_b32_e32 v2, s27
	v_add_co_u32_e32 v0, vcc, s28, v0
	v_and_b32_e32 v4, 7, v26
	v_addc_co_u32_e32 v1, vcc, v2, v1, vcc
	v_lshlrev_b32_e32 v2, 2, v4
	v_add_co_u32_e32 v2, vcc, v0, v2
	v_addc_co_u32_e32 v3, vcc, 0, v1, vcc
	v_cmp_gt_u32_e32 vcc, 4, v4
	s_waitcnt vmcnt(0) lgkmcnt(0)
	s_barrier
	flat_store_dword v[2:3], v26
	s_waitcnt vmcnt(0) lgkmcnt(0)
	buffer_wbinvl1_vol
	s_and_saveexec_b64 s[0:1], vcc
	s_cbranch_execz .LBB4_410
; %bb.409:
	flat_load_dword v5, v[2:3] offset:16
	s_waitcnt vmcnt(0) lgkmcnt(0)
	v_add_u32_e32 v31, v5, v26
.LBB4_410:
	s_or_b64 exec, exec, s[0:1]
	v_cmp_gt_u32_e32 vcc, 2, v4
	buffer_wbinvl1_vol
	flat_store_dword v[2:3], v31
	s_waitcnt vmcnt(0) lgkmcnt(0)
	buffer_wbinvl1_vol
	s_and_saveexec_b64 s[0:1], vcc
	s_cbranch_execz .LBB4_412
; %bb.411:
	flat_load_dword v5, v[2:3] offset:8
	s_waitcnt vmcnt(0) lgkmcnt(0)
	v_add_u32_e32 v31, v5, v31
.LBB4_412:
	s_or_b64 exec, exec, s[0:1]
	v_cmp_eq_u32_e64 s[0:1], 0, v4
	buffer_wbinvl1_vol
	flat_store_dword v[2:3], v31
	s_waitcnt vmcnt(0) lgkmcnt(0)
	buffer_wbinvl1_vol
	s_and_saveexec_b64 s[2:3], s[0:1]
	s_cbranch_execnz .LBB4_415
; %bb.413:
	s_or_b64 exec, exec, s[2:3]
	buffer_wbinvl1_vol
	s_and_saveexec_b64 s[2:3], s[0:1]
	s_cbranch_execnz .LBB4_416
.LBB4_414:
	s_endpgm
.LBB4_415:
	flat_load_dword v0, v[0:1] offset:4
	s_waitcnt vmcnt(0) lgkmcnt(0)
	v_add_u32_e32 v31, v0, v31
	s_or_b64 exec, exec, s[2:3]
	buffer_wbinvl1_vol
	s_and_saveexec_b64 s[2:3], s[0:1]
	s_cbranch_execz .LBB4_414
.LBB4_416:
	s_load_dwordx2 s[6:7], s[6:7], 0x50
	v_mbcnt_lo_u32_b32 v0, -1, 0
	v_mbcnt_hi_u32_b32 v33, -1, v0
	v_readfirstlane_b32 s2, v33
	v_mov_b32_e32 v5, 0
	v_mov_b32_e32 v6, 0
	v_cmp_eq_u32_e64 s[2:3], s2, v33
	s_and_saveexec_b64 s[8:9], s[2:3]
	s_cbranch_execz .LBB4_422
; %bb.417:
	v_mov_b32_e32 v0, 0
	s_waitcnt lgkmcnt(0)
	global_load_dwordx2 v[3:4], v0, s[6:7] offset:24 glc
	s_waitcnt vmcnt(0)
	buffer_wbinvl1_vol
	global_load_dwordx2 v[1:2], v0, s[6:7] offset:40
	global_load_dwordx2 v[5:6], v0, s[6:7]
	s_waitcnt vmcnt(1)
	v_and_b32_e32 v1, v1, v3
	v_and_b32_e32 v2, v2, v4
	v_mul_lo_u32 v2, v2, 24
	v_mul_hi_u32 v7, v1, 24
	v_mul_lo_u32 v1, v1, 24
	v_add_u32_e32 v2, v7, v2
	s_waitcnt vmcnt(0)
	v_add_co_u32_e32 v1, vcc, v5, v1
	v_addc_co_u32_e32 v2, vcc, v6, v2, vcc
	global_load_dwordx2 v[1:2], v[1:2], off glc
	s_waitcnt vmcnt(0)
	global_atomic_cmpswap_x2 v[5:6], v0, v[1:4], s[6:7] offset:24 glc
	s_waitcnt vmcnt(0)
	buffer_wbinvl1_vol
	v_cmp_ne_u64_e32 vcc, v[5:6], v[3:4]
	s_and_saveexec_b64 s[10:11], vcc
	s_cbranch_execz .LBB4_421
; %bb.418:
	s_mov_b64 s[12:13], 0
.LBB4_419:                              ; =>This Inner Loop Header: Depth=1
	s_sleep 1
	global_load_dwordx2 v[1:2], v0, s[6:7] offset:40
	global_load_dwordx2 v[7:8], v0, s[6:7]
	v_mov_b32_e32 v3, v5
	v_mov_b32_e32 v4, v6
	s_waitcnt vmcnt(1)
	v_and_b32_e32 v1, v1, v3
	s_waitcnt vmcnt(0)
	v_mad_u64_u32 v[5:6], s[14:15], v1, 24, v[7:8]
	v_and_b32_e32 v2, v2, v4
	v_mov_b32_e32 v1, v6
	v_mad_u64_u32 v[1:2], s[14:15], v2, 24, v[1:2]
	v_mov_b32_e32 v6, v1
	global_load_dwordx2 v[1:2], v[5:6], off glc
	s_waitcnt vmcnt(0)
	global_atomic_cmpswap_x2 v[5:6], v0, v[1:4], s[6:7] offset:24 glc
	s_waitcnt vmcnt(0)
	buffer_wbinvl1_vol
	v_cmp_eq_u64_e32 vcc, v[5:6], v[3:4]
	s_or_b64 s[12:13], vcc, s[12:13]
	s_andn2_b64 exec, exec, s[12:13]
	s_cbranch_execnz .LBB4_419
; %bb.420:
	s_or_b64 exec, exec, s[12:13]
.LBB4_421:
	s_or_b64 exec, exec, s[10:11]
.LBB4_422:
	s_or_b64 exec, exec, s[8:9]
	v_mov_b32_e32 v4, 0
	s_waitcnt lgkmcnt(0)
	global_load_dwordx2 v[7:8], v4, s[6:7] offset:40
	global_load_dwordx4 v[0:3], v4, s[6:7]
	v_readfirstlane_b32 s9, v6
	v_readfirstlane_b32 s8, v5
	s_mov_b64 s[10:11], exec
	s_waitcnt vmcnt(1)
	v_readfirstlane_b32 s12, v7
	v_readfirstlane_b32 s13, v8
	s_and_b64 s[12:13], s[12:13], s[8:9]
	s_mul_i32 s14, s13, 24
	s_mul_hi_u32 s15, s12, 24
	s_mul_i32 s16, s12, 24
	s_add_i32 s14, s15, s14
	v_mov_b32_e32 v5, s14
	s_waitcnt vmcnt(0)
	v_add_co_u32_e32 v7, vcc, s16, v0
	v_addc_co_u32_e32 v8, vcc, v1, v5, vcc
	s_and_saveexec_b64 s[14:15], s[2:3]
	s_cbranch_execz .LBB4_424
; %bb.423:
	v_mov_b32_e32 v9, s10
	v_mov_b32_e32 v10, s11
	;; [unrolled: 1-line block ×4, first 2 shown]
	global_store_dwordx4 v[7:8], v[9:12], off offset:8
.LBB4_424:
	s_or_b64 exec, exec, s[14:15]
	s_lshl_b64 s[10:11], s[12:13], 12
	v_mov_b32_e32 v5, s11
	v_add_co_u32_e32 v2, vcc, s10, v2
	v_addc_co_u32_e32 v11, vcc, v3, v5, vcc
	v_lshlrev_b32_e32 v32, 6, v33
	s_mov_b32 s12, 0
	v_mov_b32_e32 v3, 33
	v_mov_b32_e32 v5, v4
	;; [unrolled: 1-line block ×3, first 2 shown]
	v_readfirstlane_b32 s10, v2
	v_readfirstlane_b32 s11, v11
	v_add_co_u32_e32 v9, vcc, v2, v32
	s_mov_b32 s13, s12
	s_mov_b32 s14, s12
	;; [unrolled: 1-line block ×3, first 2 shown]
	s_nop 0
	global_store_dwordx4 v32, v[3:6], s[10:11]
	v_mov_b32_e32 v2, s12
	v_addc_co_u32_e32 v10, vcc, 0, v11, vcc
	v_mov_b32_e32 v3, s13
	v_mov_b32_e32 v4, s14
	;; [unrolled: 1-line block ×3, first 2 shown]
	global_store_dwordx4 v32, v[2:5], s[10:11] offset:16
	global_store_dwordx4 v32, v[2:5], s[10:11] offset:32
	;; [unrolled: 1-line block ×3, first 2 shown]
	s_and_saveexec_b64 s[10:11], s[2:3]
	s_cbranch_execz .LBB4_432
; %bb.425:
	v_mov_b32_e32 v6, 0
	global_load_dwordx2 v[13:14], v6, s[6:7] offset:32 glc
	global_load_dwordx2 v[2:3], v6, s[6:7] offset:40
	v_mov_b32_e32 v11, s8
	v_mov_b32_e32 v12, s9
	s_waitcnt vmcnt(0)
	v_and_b32_e32 v2, s8, v2
	v_and_b32_e32 v3, s9, v3
	v_mul_lo_u32 v3, v3, 24
	v_mul_hi_u32 v4, v2, 24
	v_mul_lo_u32 v2, v2, 24
	v_add_u32_e32 v3, v4, v3
	v_add_co_u32_e32 v4, vcc, v0, v2
	v_addc_co_u32_e32 v5, vcc, v1, v3, vcc
	global_store_dwordx2 v[4:5], v[13:14], off
	s_waitcnt vmcnt(0)
	global_atomic_cmpswap_x2 v[2:3], v6, v[11:14], s[6:7] offset:32 glc
	s_waitcnt vmcnt(0)
	v_cmp_ne_u64_e32 vcc, v[2:3], v[13:14]
	s_and_saveexec_b64 s[12:13], vcc
	s_cbranch_execz .LBB4_428
; %bb.426:
	s_mov_b64 s[14:15], 0
.LBB4_427:                              ; =>This Inner Loop Header: Depth=1
	s_sleep 1
	global_store_dwordx2 v[4:5], v[2:3], off
	v_mov_b32_e32 v0, s8
	v_mov_b32_e32 v1, s9
	s_waitcnt vmcnt(0)
	global_atomic_cmpswap_x2 v[0:1], v6, v[0:3], s[6:7] offset:32 glc
	s_waitcnt vmcnt(0)
	v_cmp_eq_u64_e32 vcc, v[0:1], v[2:3]
	v_mov_b32_e32 v3, v1
	s_or_b64 s[14:15], vcc, s[14:15]
	v_mov_b32_e32 v2, v0
	s_andn2_b64 exec, exec, s[14:15]
	s_cbranch_execnz .LBB4_427
.LBB4_428:
	s_or_b64 exec, exec, s[12:13]
	v_mov_b32_e32 v3, 0
	global_load_dwordx2 v[0:1], v3, s[6:7] offset:16
	s_mov_b64 s[12:13], exec
	v_mbcnt_lo_u32_b32 v2, s12, 0
	v_mbcnt_hi_u32_b32 v2, s13, v2
	v_cmp_eq_u32_e32 vcc, 0, v2
	s_and_saveexec_b64 s[14:15], vcc
	s_cbranch_execz .LBB4_430
; %bb.429:
	s_bcnt1_i32_b64 s12, s[12:13]
	v_mov_b32_e32 v2, s12
	s_waitcnt vmcnt(0)
	global_atomic_add_x2 v[0:1], v[2:3], off offset:8
.LBB4_430:
	s_or_b64 exec, exec, s[14:15]
	s_waitcnt vmcnt(0)
	global_load_dwordx2 v[2:3], v[0:1], off offset:16
	s_waitcnt vmcnt(0)
	v_cmp_eq_u64_e32 vcc, 0, v[2:3]
	s_cbranch_vccnz .LBB4_432
; %bb.431:
	global_load_dword v0, v[0:1], off offset:24
	v_mov_b32_e32 v1, 0
	s_waitcnt vmcnt(0)
	v_readfirstlane_b32 s12, v0
	s_and_b32 m0, s12, 0xffffff
	global_store_dwordx2 v[2:3], v[0:1], off
	s_sendmsg sendmsg(MSG_INTERRUPT)
.LBB4_432:
	s_or_b64 exec, exec, s[10:11]
	s_branch .LBB4_436
.LBB4_433:                              ;   in Loop: Header=BB4_436 Depth=1
	s_or_b64 exec, exec, s[10:11]
	v_readfirstlane_b32 s10, v0
	s_cmp_eq_u32 s10, 0
	s_cbranch_scc1 .LBB4_435
; %bb.434:                              ;   in Loop: Header=BB4_436 Depth=1
	s_sleep 1
	s_cbranch_execnz .LBB4_436
	s_branch .LBB4_438
.LBB4_435:
	s_branch .LBB4_438
.LBB4_436:                              ; =>This Inner Loop Header: Depth=1
	v_mov_b32_e32 v0, 1
	s_and_saveexec_b64 s[10:11], s[2:3]
	s_cbranch_execz .LBB4_433
; %bb.437:                              ;   in Loop: Header=BB4_436 Depth=1
	global_load_dword v0, v[7:8], off offset:20 glc
	s_waitcnt vmcnt(0)
	buffer_wbinvl1_vol
	v_and_b32_e32 v0, 1, v0
	s_branch .LBB4_433
.LBB4_438:
	global_load_dwordx2 v[0:1], v[9:10], off
	s_and_saveexec_b64 s[10:11], s[2:3]
	s_cbranch_execz .LBB4_441
; %bb.439:
	v_mov_b32_e32 v8, 0
	global_load_dwordx2 v[2:3], v8, s[6:7] offset:40
	global_load_dwordx2 v[11:12], v8, s[6:7] offset:24 glc
	global_load_dwordx2 v[4:5], v8, s[6:7]
	s_waitcnt vmcnt(2)
	v_readfirstlane_b32 s12, v2
	v_readfirstlane_b32 s13, v3
	s_add_u32 s14, s12, 1
	s_addc_u32 s15, s13, 0
	s_add_u32 s2, s14, s8
	s_addc_u32 s3, s15, s9
	s_cmp_eq_u64 s[2:3], 0
	s_cselect_b32 s3, s15, s3
	s_cselect_b32 s2, s14, s2
	s_and_b64 s[8:9], s[2:3], s[12:13]
	s_mul_i32 s9, s9, 24
	s_mul_hi_u32 s12, s8, 24
	s_mul_i32 s8, s8, 24
	s_add_i32 s9, s12, s9
	v_mov_b32_e32 v2, s9
	s_waitcnt vmcnt(0)
	v_add_co_u32_e32 v6, vcc, s8, v4
	v_addc_co_u32_e32 v7, vcc, v5, v2, vcc
	v_mov_b32_e32 v9, s2
	global_store_dwordx2 v[6:7], v[11:12], off
	v_mov_b32_e32 v10, s3
	s_waitcnt vmcnt(0)
	global_atomic_cmpswap_x2 v[4:5], v8, v[9:12], s[6:7] offset:24 glc
	s_mov_b64 s[8:9], 0
	s_waitcnt vmcnt(0)
	v_cmp_ne_u64_e32 vcc, v[4:5], v[11:12]
	s_and_b64 exec, exec, vcc
	s_cbranch_execz .LBB4_441
.LBB4_440:                              ; =>This Inner Loop Header: Depth=1
	s_sleep 1
	global_store_dwordx2 v[6:7], v[4:5], off
	v_mov_b32_e32 v2, s2
	v_mov_b32_e32 v3, s3
	s_waitcnt vmcnt(0)
	global_atomic_cmpswap_x2 v[2:3], v8, v[2:5], s[6:7] offset:24 glc
	s_waitcnt vmcnt(0)
	v_cmp_eq_u64_e32 vcc, v[2:3], v[4:5]
	v_mov_b32_e32 v5, v3
	s_or_b64 s[8:9], vcc, s[8:9]
	v_mov_b32_e32 v4, v2
	s_andn2_b64 exec, exec, s[8:9]
	s_cbranch_execnz .LBB4_440
.LBB4_441:
	s_or_b64 exec, exec, s[10:11]
	s_getpc_b64 s[8:9]
	s_add_u32 s8, s8, .str.9@rel32@lo+4
	s_addc_u32 s9, s9, .str.9@rel32@hi+12
	s_cmp_lg_u64 s[8:9], 0
	s_cselect_b64 s[2:3], -1, 0
	s_cmp_eq_u64 s[8:9], 0
	s_mov_b64 s[8:9], 0
	s_cbranch_scc1 .LBB4_445
; %bb.442:
	v_mov_b32_e32 v2, 0
	s_getpc_b64 s[8:9]
	s_add_u32 s8, s8, .str.9@rel32@lo+3
	s_addc_u32 s9, s9, .str.9@rel32@hi+11
.LBB4_443:                              ; =>This Inner Loop Header: Depth=1
	global_load_ubyte v3, v2, s[8:9] offset:1
	s_add_u32 s10, s8, 1
	s_addc_u32 s11, s9, 0
	s_mov_b64 s[8:9], s[10:11]
	s_waitcnt vmcnt(0)
	v_cmp_ne_u32_e32 vcc, 0, v3
	s_cbranch_vccnz .LBB4_443
; %bb.444:
	s_getpc_b64 s[8:9]
	s_add_u32 s8, s8, .str.9@rel32@lo+4
	s_addc_u32 s9, s9, .str.9@rel32@hi+12
	s_sub_u32 s8, s10, s8
	s_subb_u32 s9, s11, s9
	s_add_u32 s8, s8, 1
	s_addc_u32 s9, s9, 0
.LBB4_445:
	s_and_b64 vcc, exec, s[2:3]
	s_cbranch_vccz .LBB4_531
; %bb.446:
	s_waitcnt vmcnt(0)
	v_and_b32_e32 v34, 2, v0
	v_mov_b32_e32 v28, 0
	v_and_b32_e32 v2, -3, v0
	v_mov_b32_e32 v3, v1
	v_mov_b32_e32 v8, 2
	;; [unrolled: 1-line block ×3, first 2 shown]
	s_getpc_b64 s[10:11]
	s_add_u32 s10, s10, .str.9@rel32@lo+4
	s_addc_u32 s11, s11, .str.9@rel32@hi+12
	s_branch .LBB4_448
.LBB4_447:                              ;   in Loop: Header=BB4_448 Depth=1
	s_or_b64 exec, exec, s[16:17]
	s_sub_u32 s8, s8, s12
	s_subb_u32 s9, s9, s13
	s_add_u32 s10, s10, s12
	s_addc_u32 s11, s11, s13
	s_cmp_lg_u64 s[8:9], 0
	s_cbranch_scc0 .LBB4_530
.LBB4_448:                              ; =>This Loop Header: Depth=1
                                        ;     Child Loop BB4_451 Depth 2
                                        ;     Child Loop BB4_459 Depth 2
	;; [unrolled: 1-line block ×11, first 2 shown]
	v_cmp_lt_u64_e64 s[2:3], s[8:9], 56
	v_cmp_gt_u64_e64 s[14:15], s[8:9], 7
	s_and_b64 s[2:3], s[2:3], exec
	s_cselect_b32 s13, s9, 0
	s_cselect_b32 s12, s8, 56
	s_add_u32 s2, s10, 8
	s_addc_u32 s3, s11, 0
	s_and_b64 vcc, exec, s[14:15]
	s_cbranch_vccnz .LBB4_452
; %bb.449:                              ;   in Loop: Header=BB4_448 Depth=1
	s_cmp_eq_u64 s[8:9], 0
	s_cbranch_scc1 .LBB4_453
; %bb.450:                              ;   in Loop: Header=BB4_448 Depth=1
	v_mov_b32_e32 v4, 0
	s_lshl_b64 s[2:3], s[12:13], 3
	s_mov_b64 s[14:15], 0
	v_mov_b32_e32 v5, 0
	s_mov_b64 s[16:17], s[10:11]
.LBB4_451:                              ;   Parent Loop BB4_448 Depth=1
                                        ; =>  This Inner Loop Header: Depth=2
	global_load_ubyte v6, v28, s[16:17]
	s_waitcnt vmcnt(0)
	v_and_b32_e32 v27, 0xffff, v6
	v_lshlrev_b64 v[6:7], s14, v[27:28]
	s_add_u32 s14, s14, 8
	s_addc_u32 s15, s15, 0
	s_add_u32 s16, s16, 1
	s_addc_u32 s17, s17, 0
	v_or_b32_e32 v4, v6, v4
	s_cmp_lg_u32 s2, s14
	v_or_b32_e32 v5, v7, v5
	s_cbranch_scc1 .LBB4_451
	s_branch .LBB4_454
.LBB4_452:                              ;   in Loop: Header=BB4_448 Depth=1
	s_mov_b32 s18, 0
	s_branch .LBB4_455
.LBB4_453:                              ;   in Loop: Header=BB4_448 Depth=1
	v_mov_b32_e32 v4, 0
	v_mov_b32_e32 v5, 0
.LBB4_454:                              ;   in Loop: Header=BB4_448 Depth=1
	s_mov_b64 s[2:3], s[10:11]
	s_mov_b32 s18, 0
	s_cbranch_execnz .LBB4_456
.LBB4_455:                              ;   in Loop: Header=BB4_448 Depth=1
	global_load_dwordx2 v[4:5], v28, s[10:11]
	s_add_i32 s18, s12, -8
.LBB4_456:                              ;   in Loop: Header=BB4_448 Depth=1
	s_add_u32 s14, s2, 8
	s_addc_u32 s15, s3, 0
	s_cmp_gt_u32 s18, 7
	s_cbranch_scc1 .LBB4_460
; %bb.457:                              ;   in Loop: Header=BB4_448 Depth=1
	s_cmp_eq_u32 s18, 0
	s_cbranch_scc1 .LBB4_461
; %bb.458:                              ;   in Loop: Header=BB4_448 Depth=1
	v_mov_b32_e32 v10, 0
	s_mov_b64 s[14:15], 0
	v_mov_b32_e32 v11, 0
	s_mov_b64 s[16:17], 0
.LBB4_459:                              ;   Parent Loop BB4_448 Depth=1
                                        ; =>  This Inner Loop Header: Depth=2
	s_add_u32 s20, s2, s16
	s_addc_u32 s21, s3, s17
	global_load_ubyte v6, v28, s[20:21]
	s_add_u32 s16, s16, 1
	s_addc_u32 s17, s17, 0
	s_waitcnt vmcnt(0)
	v_and_b32_e32 v27, 0xffff, v6
	v_lshlrev_b64 v[6:7], s14, v[27:28]
	s_add_u32 s14, s14, 8
	s_addc_u32 s15, s15, 0
	v_or_b32_e32 v10, v6, v10
	s_cmp_lg_u32 s18, s16
	v_or_b32_e32 v11, v7, v11
	s_cbranch_scc1 .LBB4_459
	s_branch .LBB4_462
.LBB4_460:                              ;   in Loop: Header=BB4_448 Depth=1
                                        ; implicit-def: $vgpr10_vgpr11
	s_mov_b32 s19, 0
	s_branch .LBB4_463
.LBB4_461:                              ;   in Loop: Header=BB4_448 Depth=1
	v_mov_b32_e32 v10, 0
	v_mov_b32_e32 v11, 0
.LBB4_462:                              ;   in Loop: Header=BB4_448 Depth=1
	s_mov_b64 s[14:15], s[2:3]
	s_mov_b32 s19, 0
	s_cbranch_execnz .LBB4_464
.LBB4_463:                              ;   in Loop: Header=BB4_448 Depth=1
	global_load_dwordx2 v[10:11], v28, s[2:3]
	s_add_i32 s19, s18, -8
.LBB4_464:                              ;   in Loop: Header=BB4_448 Depth=1
	s_add_u32 s2, s14, 8
	s_addc_u32 s3, s15, 0
	s_cmp_gt_u32 s19, 7
	s_cbranch_scc1 .LBB4_468
; %bb.465:                              ;   in Loop: Header=BB4_448 Depth=1
	s_cmp_eq_u32 s19, 0
	s_cbranch_scc1 .LBB4_469
; %bb.466:                              ;   in Loop: Header=BB4_448 Depth=1
	v_mov_b32_e32 v12, 0
	s_mov_b64 s[2:3], 0
	v_mov_b32_e32 v13, 0
	s_mov_b64 s[16:17], 0
.LBB4_467:                              ;   Parent Loop BB4_448 Depth=1
                                        ; =>  This Inner Loop Header: Depth=2
	s_add_u32 s20, s14, s16
	s_addc_u32 s21, s15, s17
	global_load_ubyte v6, v28, s[20:21]
	s_add_u32 s16, s16, 1
	s_addc_u32 s17, s17, 0
	s_waitcnt vmcnt(0)
	v_and_b32_e32 v27, 0xffff, v6
	v_lshlrev_b64 v[6:7], s2, v[27:28]
	s_add_u32 s2, s2, 8
	s_addc_u32 s3, s3, 0
	v_or_b32_e32 v12, v6, v12
	s_cmp_lg_u32 s19, s16
	v_or_b32_e32 v13, v7, v13
	s_cbranch_scc1 .LBB4_467
	s_branch .LBB4_470
.LBB4_468:                              ;   in Loop: Header=BB4_448 Depth=1
	s_mov_b32 s18, 0
	s_branch .LBB4_471
.LBB4_469:                              ;   in Loop: Header=BB4_448 Depth=1
	v_mov_b32_e32 v12, 0
	v_mov_b32_e32 v13, 0
.LBB4_470:                              ;   in Loop: Header=BB4_448 Depth=1
	s_mov_b64 s[2:3], s[14:15]
	s_mov_b32 s18, 0
	s_cbranch_execnz .LBB4_472
.LBB4_471:                              ;   in Loop: Header=BB4_448 Depth=1
	global_load_dwordx2 v[12:13], v28, s[14:15]
	s_add_i32 s18, s19, -8
.LBB4_472:                              ;   in Loop: Header=BB4_448 Depth=1
	s_add_u32 s14, s2, 8
	s_addc_u32 s15, s3, 0
	s_cmp_gt_u32 s18, 7
	s_cbranch_scc1 .LBB4_476
; %bb.473:                              ;   in Loop: Header=BB4_448 Depth=1
	s_cmp_eq_u32 s18, 0
	s_cbranch_scc1 .LBB4_477
; %bb.474:                              ;   in Loop: Header=BB4_448 Depth=1
	v_mov_b32_e32 v14, 0
	s_mov_b64 s[14:15], 0
	v_mov_b32_e32 v15, 0
	s_mov_b64 s[16:17], 0
.LBB4_475:                              ;   Parent Loop BB4_448 Depth=1
                                        ; =>  This Inner Loop Header: Depth=2
	s_add_u32 s20, s2, s16
	s_addc_u32 s21, s3, s17
	global_load_ubyte v6, v28, s[20:21]
	s_add_u32 s16, s16, 1
	s_addc_u32 s17, s17, 0
	s_waitcnt vmcnt(0)
	v_and_b32_e32 v27, 0xffff, v6
	v_lshlrev_b64 v[6:7], s14, v[27:28]
	s_add_u32 s14, s14, 8
	s_addc_u32 s15, s15, 0
	v_or_b32_e32 v14, v6, v14
	s_cmp_lg_u32 s18, s16
	v_or_b32_e32 v15, v7, v15
	s_cbranch_scc1 .LBB4_475
	s_branch .LBB4_478
.LBB4_476:                              ;   in Loop: Header=BB4_448 Depth=1
                                        ; implicit-def: $vgpr14_vgpr15
	s_mov_b32 s19, 0
	s_branch .LBB4_479
.LBB4_477:                              ;   in Loop: Header=BB4_448 Depth=1
	v_mov_b32_e32 v14, 0
	v_mov_b32_e32 v15, 0
.LBB4_478:                              ;   in Loop: Header=BB4_448 Depth=1
	s_mov_b64 s[14:15], s[2:3]
	s_mov_b32 s19, 0
	s_cbranch_execnz .LBB4_480
.LBB4_479:                              ;   in Loop: Header=BB4_448 Depth=1
	global_load_dwordx2 v[14:15], v28, s[2:3]
	s_add_i32 s19, s18, -8
.LBB4_480:                              ;   in Loop: Header=BB4_448 Depth=1
	s_add_u32 s2, s14, 8
	s_addc_u32 s3, s15, 0
	s_cmp_gt_u32 s19, 7
	s_cbranch_scc1 .LBB4_484
; %bb.481:                              ;   in Loop: Header=BB4_448 Depth=1
	s_cmp_eq_u32 s19, 0
	s_cbranch_scc1 .LBB4_485
; %bb.482:                              ;   in Loop: Header=BB4_448 Depth=1
	v_mov_b32_e32 v16, 0
	s_mov_b64 s[2:3], 0
	v_mov_b32_e32 v17, 0
	s_mov_b64 s[16:17], 0
.LBB4_483:                              ;   Parent Loop BB4_448 Depth=1
                                        ; =>  This Inner Loop Header: Depth=2
	s_add_u32 s20, s14, s16
	s_addc_u32 s21, s15, s17
	global_load_ubyte v6, v28, s[20:21]
	s_add_u32 s16, s16, 1
	s_addc_u32 s17, s17, 0
	s_waitcnt vmcnt(0)
	v_and_b32_e32 v27, 0xffff, v6
	v_lshlrev_b64 v[6:7], s2, v[27:28]
	s_add_u32 s2, s2, 8
	s_addc_u32 s3, s3, 0
	v_or_b32_e32 v16, v6, v16
	s_cmp_lg_u32 s19, s16
	v_or_b32_e32 v17, v7, v17
	s_cbranch_scc1 .LBB4_483
	s_branch .LBB4_486
.LBB4_484:                              ;   in Loop: Header=BB4_448 Depth=1
	s_mov_b32 s18, 0
	s_branch .LBB4_487
.LBB4_485:                              ;   in Loop: Header=BB4_448 Depth=1
	v_mov_b32_e32 v16, 0
	v_mov_b32_e32 v17, 0
.LBB4_486:                              ;   in Loop: Header=BB4_448 Depth=1
	s_mov_b64 s[2:3], s[14:15]
	s_mov_b32 s18, 0
	s_cbranch_execnz .LBB4_488
.LBB4_487:                              ;   in Loop: Header=BB4_448 Depth=1
	global_load_dwordx2 v[16:17], v28, s[14:15]
	s_add_i32 s18, s19, -8
.LBB4_488:                              ;   in Loop: Header=BB4_448 Depth=1
	s_add_u32 s14, s2, 8
	s_addc_u32 s15, s3, 0
	s_cmp_gt_u32 s18, 7
	s_cbranch_scc1 .LBB4_492
; %bb.489:                              ;   in Loop: Header=BB4_448 Depth=1
	s_cmp_eq_u32 s18, 0
	s_cbranch_scc1 .LBB4_493
; %bb.490:                              ;   in Loop: Header=BB4_448 Depth=1
	v_mov_b32_e32 v18, 0
	s_mov_b64 s[14:15], 0
	v_mov_b32_e32 v19, 0
	s_mov_b64 s[16:17], 0
.LBB4_491:                              ;   Parent Loop BB4_448 Depth=1
                                        ; =>  This Inner Loop Header: Depth=2
	s_add_u32 s20, s2, s16
	s_addc_u32 s21, s3, s17
	global_load_ubyte v6, v28, s[20:21]
	s_add_u32 s16, s16, 1
	s_addc_u32 s17, s17, 0
	s_waitcnt vmcnt(0)
	v_and_b32_e32 v27, 0xffff, v6
	v_lshlrev_b64 v[6:7], s14, v[27:28]
	s_add_u32 s14, s14, 8
	s_addc_u32 s15, s15, 0
	v_or_b32_e32 v18, v6, v18
	s_cmp_lg_u32 s18, s16
	v_or_b32_e32 v19, v7, v19
	s_cbranch_scc1 .LBB4_491
	s_branch .LBB4_494
.LBB4_492:                              ;   in Loop: Header=BB4_448 Depth=1
                                        ; implicit-def: $vgpr18_vgpr19
	s_mov_b32 s19, 0
	s_branch .LBB4_495
.LBB4_493:                              ;   in Loop: Header=BB4_448 Depth=1
	v_mov_b32_e32 v18, 0
	v_mov_b32_e32 v19, 0
.LBB4_494:                              ;   in Loop: Header=BB4_448 Depth=1
	s_mov_b64 s[14:15], s[2:3]
	s_mov_b32 s19, 0
	s_cbranch_execnz .LBB4_496
.LBB4_495:                              ;   in Loop: Header=BB4_448 Depth=1
	global_load_dwordx2 v[18:19], v28, s[2:3]
	s_add_i32 s19, s18, -8
.LBB4_496:                              ;   in Loop: Header=BB4_448 Depth=1
	s_cmp_gt_u32 s19, 7
	s_cbranch_scc1 .LBB4_500
; %bb.497:                              ;   in Loop: Header=BB4_448 Depth=1
	s_cmp_eq_u32 s19, 0
	s_cbranch_scc1 .LBB4_501
; %bb.498:                              ;   in Loop: Header=BB4_448 Depth=1
	v_mov_b32_e32 v20, 0
	s_mov_b64 s[2:3], 0
	v_mov_b32_e32 v21, 0
	s_mov_b64 s[16:17], s[14:15]
.LBB4_499:                              ;   Parent Loop BB4_448 Depth=1
                                        ; =>  This Inner Loop Header: Depth=2
	global_load_ubyte v6, v28, s[16:17]
	s_add_i32 s19, s19, -1
	s_waitcnt vmcnt(0)
	v_and_b32_e32 v27, 0xffff, v6
	v_lshlrev_b64 v[6:7], s2, v[27:28]
	s_add_u32 s2, s2, 8
	s_addc_u32 s3, s3, 0
	s_add_u32 s16, s16, 1
	s_addc_u32 s17, s17, 0
	v_or_b32_e32 v20, v6, v20
	s_cmp_lg_u32 s19, 0
	v_or_b32_e32 v21, v7, v21
	s_cbranch_scc1 .LBB4_499
	s_branch .LBB4_502
.LBB4_500:                              ;   in Loop: Header=BB4_448 Depth=1
	s_branch .LBB4_503
.LBB4_501:                              ;   in Loop: Header=BB4_448 Depth=1
	v_mov_b32_e32 v20, 0
	v_mov_b32_e32 v21, 0
.LBB4_502:                              ;   in Loop: Header=BB4_448 Depth=1
	s_cbranch_execnz .LBB4_504
.LBB4_503:                              ;   in Loop: Header=BB4_448 Depth=1
	global_load_dwordx2 v[20:21], v28, s[14:15]
.LBB4_504:                              ;   in Loop: Header=BB4_448 Depth=1
	v_readfirstlane_b32 s2, v33
	v_mov_b32_e32 v6, 0
	v_mov_b32_e32 v7, 0
	v_cmp_eq_u32_e64 s[2:3], s2, v33
	s_and_saveexec_b64 s[14:15], s[2:3]
	s_cbranch_execz .LBB4_510
; %bb.505:                              ;   in Loop: Header=BB4_448 Depth=1
	global_load_dwordx2 v[24:25], v28, s[6:7] offset:24 glc
	s_waitcnt vmcnt(0)
	buffer_wbinvl1_vol
	global_load_dwordx2 v[6:7], v28, s[6:7] offset:40
	global_load_dwordx2 v[22:23], v28, s[6:7]
	s_waitcnt vmcnt(1)
	v_and_b32_e32 v6, v6, v24
	v_and_b32_e32 v7, v7, v25
	v_mul_lo_u32 v7, v7, 24
	v_mul_hi_u32 v27, v6, 24
	v_mul_lo_u32 v6, v6, 24
	v_add_u32_e32 v7, v27, v7
	s_waitcnt vmcnt(0)
	v_add_co_u32_e32 v6, vcc, v22, v6
	v_addc_co_u32_e32 v7, vcc, v23, v7, vcc
	global_load_dwordx2 v[22:23], v[6:7], off glc
	s_waitcnt vmcnt(0)
	global_atomic_cmpswap_x2 v[6:7], v28, v[22:25], s[6:7] offset:24 glc
	s_waitcnt vmcnt(0)
	buffer_wbinvl1_vol
	v_cmp_ne_u64_e32 vcc, v[6:7], v[24:25]
	s_and_saveexec_b64 s[16:17], vcc
	s_cbranch_execz .LBB4_509
; %bb.506:                              ;   in Loop: Header=BB4_448 Depth=1
	s_mov_b64 s[18:19], 0
.LBB4_507:                              ;   Parent Loop BB4_448 Depth=1
                                        ; =>  This Inner Loop Header: Depth=2
	s_sleep 1
	global_load_dwordx2 v[22:23], v28, s[6:7] offset:40
	global_load_dwordx2 v[29:30], v28, s[6:7]
	v_mov_b32_e32 v25, v7
	v_mov_b32_e32 v24, v6
	s_waitcnt vmcnt(1)
	v_and_b32_e32 v6, v22, v24
	s_waitcnt vmcnt(0)
	v_mad_u64_u32 v[6:7], s[20:21], v6, 24, v[29:30]
	v_and_b32_e32 v22, v23, v25
	v_mad_u64_u32 v[22:23], s[20:21], v22, 24, v[7:8]
	v_mov_b32_e32 v7, v22
	global_load_dwordx2 v[22:23], v[6:7], off glc
	s_waitcnt vmcnt(0)
	global_atomic_cmpswap_x2 v[6:7], v28, v[22:25], s[6:7] offset:24 glc
	s_waitcnt vmcnt(0)
	buffer_wbinvl1_vol
	v_cmp_eq_u64_e32 vcc, v[6:7], v[24:25]
	s_or_b64 s[18:19], vcc, s[18:19]
	s_andn2_b64 exec, exec, s[18:19]
	s_cbranch_execnz .LBB4_507
; %bb.508:                              ;   in Loop: Header=BB4_448 Depth=1
	s_or_b64 exec, exec, s[18:19]
.LBB4_509:                              ;   in Loop: Header=BB4_448 Depth=1
	s_or_b64 exec, exec, s[16:17]
.LBB4_510:                              ;   in Loop: Header=BB4_448 Depth=1
	s_or_b64 exec, exec, s[14:15]
	global_load_dwordx2 v[29:30], v28, s[6:7] offset:40
	global_load_dwordx4 v[22:25], v28, s[6:7]
	v_readfirstlane_b32 s15, v7
	v_readfirstlane_b32 s14, v6
	s_mov_b64 s[16:17], exec
	s_waitcnt vmcnt(1)
	v_readfirstlane_b32 s18, v29
	v_readfirstlane_b32 s19, v30
	s_and_b64 s[18:19], s[18:19], s[14:15]
	s_mul_i32 s20, s19, 24
	s_mul_hi_u32 s21, s18, 24
	s_mul_i32 s22, s18, 24
	s_add_i32 s20, s21, s20
	v_mov_b32_e32 v6, s20
	s_waitcnt vmcnt(0)
	v_add_co_u32_e32 v29, vcc, s22, v22
	v_addc_co_u32_e32 v30, vcc, v23, v6, vcc
	s_and_saveexec_b64 s[20:21], s[2:3]
	s_cbranch_execz .LBB4_512
; %bb.511:                              ;   in Loop: Header=BB4_448 Depth=1
	v_mov_b32_e32 v6, s16
	v_mov_b32_e32 v7, s17
	global_store_dwordx4 v[29:30], v[6:9], off offset:8
.LBB4_512:                              ;   in Loop: Header=BB4_448 Depth=1
	s_or_b64 exec, exec, s[20:21]
	s_lshl_b64 s[16:17], s[18:19], 12
	v_mov_b32_e32 v6, s17
	v_add_co_u32_e32 v24, vcc, s16, v24
	v_addc_co_u32_e32 v25, vcc, v25, v6, vcc
	v_cmp_lt_u64_e64 vcc, s[8:9], 57
	s_lshl_b32 s16, s12, 2
	v_cndmask_b32_e32 v6, 0, v34, vcc
	s_add_i32 s16, s16, 28
	v_and_b32_e32 v2, 0xffffff1f, v2
	s_and_b32 s16, s16, 0x1e0
	v_or_b32_e32 v2, v2, v6
	v_or_b32_e32 v2, s16, v2
	v_readfirstlane_b32 s16, v24
	v_readfirstlane_b32 s17, v25
	s_nop 4
	global_store_dwordx4 v32, v[2:5], s[16:17]
	global_store_dwordx4 v32, v[10:13], s[16:17] offset:16
	global_store_dwordx4 v32, v[14:17], s[16:17] offset:32
	global_store_dwordx4 v32, v[18:21], s[16:17] offset:48
	s_and_saveexec_b64 s[16:17], s[2:3]
	s_cbranch_execz .LBB4_520
; %bb.513:                              ;   in Loop: Header=BB4_448 Depth=1
	global_load_dwordx2 v[12:13], v28, s[6:7] offset:32 glc
	global_load_dwordx2 v[2:3], v28, s[6:7] offset:40
	v_mov_b32_e32 v10, s14
	v_mov_b32_e32 v11, s15
	s_waitcnt vmcnt(0)
	v_readfirstlane_b32 s18, v2
	v_readfirstlane_b32 s19, v3
	s_and_b64 s[18:19], s[18:19], s[14:15]
	s_mul_i32 s19, s19, 24
	s_mul_hi_u32 s20, s18, 24
	s_mul_i32 s18, s18, 24
	s_add_i32 s19, s20, s19
	v_mov_b32_e32 v2, s19
	v_add_co_u32_e32 v6, vcc, s18, v22
	v_addc_co_u32_e32 v7, vcc, v23, v2, vcc
	global_store_dwordx2 v[6:7], v[12:13], off
	s_waitcnt vmcnt(0)
	global_atomic_cmpswap_x2 v[4:5], v28, v[10:13], s[6:7] offset:32 glc
	s_waitcnt vmcnt(0)
	v_cmp_ne_u64_e32 vcc, v[4:5], v[12:13]
	s_and_saveexec_b64 s[18:19], vcc
	s_cbranch_execz .LBB4_516
; %bb.514:                              ;   in Loop: Header=BB4_448 Depth=1
	s_mov_b64 s[20:21], 0
.LBB4_515:                              ;   Parent Loop BB4_448 Depth=1
                                        ; =>  This Inner Loop Header: Depth=2
	s_sleep 1
	global_store_dwordx2 v[6:7], v[4:5], off
	v_mov_b32_e32 v2, s14
	v_mov_b32_e32 v3, s15
	s_waitcnt vmcnt(0)
	global_atomic_cmpswap_x2 v[2:3], v28, v[2:5], s[6:7] offset:32 glc
	s_waitcnt vmcnt(0)
	v_cmp_eq_u64_e32 vcc, v[2:3], v[4:5]
	v_mov_b32_e32 v5, v3
	s_or_b64 s[20:21], vcc, s[20:21]
	v_mov_b32_e32 v4, v2
	s_andn2_b64 exec, exec, s[20:21]
	s_cbranch_execnz .LBB4_515
.LBB4_516:                              ;   in Loop: Header=BB4_448 Depth=1
	s_or_b64 exec, exec, s[18:19]
	global_load_dwordx2 v[2:3], v28, s[6:7] offset:16
	s_mov_b64 s[20:21], exec
	v_mbcnt_lo_u32_b32 v4, s20, 0
	v_mbcnt_hi_u32_b32 v4, s21, v4
	v_cmp_eq_u32_e32 vcc, 0, v4
	s_and_saveexec_b64 s[18:19], vcc
	s_cbranch_execz .LBB4_518
; %bb.517:                              ;   in Loop: Header=BB4_448 Depth=1
	s_bcnt1_i32_b64 s20, s[20:21]
	v_mov_b32_e32 v27, s20
	s_waitcnt vmcnt(0)
	global_atomic_add_x2 v[2:3], v[27:28], off offset:8
.LBB4_518:                              ;   in Loop: Header=BB4_448 Depth=1
	s_or_b64 exec, exec, s[18:19]
	s_waitcnt vmcnt(0)
	global_load_dwordx2 v[4:5], v[2:3], off offset:16
	s_waitcnt vmcnt(0)
	v_cmp_eq_u64_e32 vcc, 0, v[4:5]
	s_cbranch_vccnz .LBB4_520
; %bb.519:                              ;   in Loop: Header=BB4_448 Depth=1
	global_load_dword v27, v[2:3], off offset:24
	s_waitcnt vmcnt(0)
	v_readfirstlane_b32 s18, v27
	s_and_b32 m0, s18, 0xffffff
	global_store_dwordx2 v[4:5], v[27:28], off
	s_sendmsg sendmsg(MSG_INTERRUPT)
.LBB4_520:                              ;   in Loop: Header=BB4_448 Depth=1
	s_or_b64 exec, exec, s[16:17]
	v_add_co_u32_e32 v2, vcc, v24, v32
	v_addc_co_u32_e32 v3, vcc, 0, v25, vcc
	s_branch .LBB4_524
.LBB4_521:                              ;   in Loop: Header=BB4_524 Depth=2
	s_or_b64 exec, exec, s[16:17]
	v_readfirstlane_b32 s16, v4
	s_cmp_eq_u32 s16, 0
	s_cbranch_scc1 .LBB4_523
; %bb.522:                              ;   in Loop: Header=BB4_524 Depth=2
	s_sleep 1
	s_cbranch_execnz .LBB4_524
	s_branch .LBB4_526
.LBB4_523:                              ;   in Loop: Header=BB4_448 Depth=1
	s_branch .LBB4_526
.LBB4_524:                              ;   Parent Loop BB4_448 Depth=1
                                        ; =>  This Inner Loop Header: Depth=2
	v_mov_b32_e32 v4, 1
	s_and_saveexec_b64 s[16:17], s[2:3]
	s_cbranch_execz .LBB4_521
; %bb.525:                              ;   in Loop: Header=BB4_524 Depth=2
	global_load_dword v4, v[29:30], off offset:20 glc
	s_waitcnt vmcnt(0)
	buffer_wbinvl1_vol
	v_and_b32_e32 v4, 1, v4
	s_branch .LBB4_521
.LBB4_526:                              ;   in Loop: Header=BB4_448 Depth=1
	global_load_dwordx2 v[2:3], v[2:3], off
	s_and_saveexec_b64 s[16:17], s[2:3]
	s_cbranch_execz .LBB4_447
; %bb.527:                              ;   in Loop: Header=BB4_448 Depth=1
	global_load_dwordx2 v[4:5], v28, s[6:7] offset:40
	global_load_dwordx2 v[14:15], v28, s[6:7] offset:24 glc
	global_load_dwordx2 v[6:7], v28, s[6:7]
	s_waitcnt vmcnt(2)
	v_readfirstlane_b32 s18, v4
	v_readfirstlane_b32 s19, v5
	s_add_u32 s20, s18, 1
	s_addc_u32 s21, s19, 0
	s_add_u32 s2, s20, s14
	s_addc_u32 s3, s21, s15
	s_cmp_eq_u64 s[2:3], 0
	s_cselect_b32 s3, s21, s3
	s_cselect_b32 s2, s20, s2
	s_and_b64 s[14:15], s[2:3], s[18:19]
	s_mul_i32 s15, s15, 24
	s_mul_hi_u32 s18, s14, 24
	s_mul_i32 s14, s14, 24
	s_add_i32 s15, s18, s15
	v_mov_b32_e32 v4, s15
	s_waitcnt vmcnt(0)
	v_add_co_u32_e32 v10, vcc, s14, v6
	v_addc_co_u32_e32 v11, vcc, v7, v4, vcc
	v_mov_b32_e32 v12, s2
	global_store_dwordx2 v[10:11], v[14:15], off
	v_mov_b32_e32 v13, s3
	s_waitcnt vmcnt(0)
	global_atomic_cmpswap_x2 v[6:7], v28, v[12:15], s[6:7] offset:24 glc
	s_waitcnt vmcnt(0)
	v_cmp_ne_u64_e32 vcc, v[6:7], v[14:15]
	s_and_b64 exec, exec, vcc
	s_cbranch_execz .LBB4_447
; %bb.528:                              ;   in Loop: Header=BB4_448 Depth=1
	s_mov_b64 s[14:15], 0
.LBB4_529:                              ;   Parent Loop BB4_448 Depth=1
                                        ; =>  This Inner Loop Header: Depth=2
	s_sleep 1
	global_store_dwordx2 v[10:11], v[6:7], off
	v_mov_b32_e32 v4, s2
	v_mov_b32_e32 v5, s3
	s_waitcnt vmcnt(0)
	global_atomic_cmpswap_x2 v[4:5], v28, v[4:7], s[6:7] offset:24 glc
	s_waitcnt vmcnt(0)
	v_cmp_eq_u64_e32 vcc, v[4:5], v[6:7]
	v_mov_b32_e32 v7, v5
	s_or_b64 s[14:15], vcc, s[14:15]
	v_mov_b32_e32 v6, v4
	s_andn2_b64 exec, exec, s[14:15]
	s_cbranch_execnz .LBB4_529
	s_branch .LBB4_447
.LBB4_530:
	s_branch .LBB4_558
.LBB4_531:
                                        ; implicit-def: $vgpr2_vgpr3
	s_cbranch_execz .LBB4_558
; %bb.532:
	v_readfirstlane_b32 s2, v33
	v_mov_b32_e32 v8, 0
	v_mov_b32_e32 v9, 0
	v_cmp_eq_u32_e64 s[2:3], s2, v33
	s_and_saveexec_b64 s[8:9], s[2:3]
	s_cbranch_execz .LBB4_538
; %bb.533:
	s_waitcnt vmcnt(0)
	v_mov_b32_e32 v2, 0
	global_load_dwordx2 v[5:6], v2, s[6:7] offset:24 glc
	s_waitcnt vmcnt(0)
	buffer_wbinvl1_vol
	global_load_dwordx2 v[3:4], v2, s[6:7] offset:40
	global_load_dwordx2 v[7:8], v2, s[6:7]
	s_waitcnt vmcnt(1)
	v_and_b32_e32 v3, v3, v5
	v_and_b32_e32 v4, v4, v6
	v_mul_lo_u32 v4, v4, 24
	v_mul_hi_u32 v9, v3, 24
	v_mul_lo_u32 v3, v3, 24
	v_add_u32_e32 v4, v9, v4
	s_waitcnt vmcnt(0)
	v_add_co_u32_e32 v3, vcc, v7, v3
	v_addc_co_u32_e32 v4, vcc, v8, v4, vcc
	global_load_dwordx2 v[3:4], v[3:4], off glc
	s_waitcnt vmcnt(0)
	global_atomic_cmpswap_x2 v[8:9], v2, v[3:6], s[6:7] offset:24 glc
	s_waitcnt vmcnt(0)
	buffer_wbinvl1_vol
	v_cmp_ne_u64_e32 vcc, v[8:9], v[5:6]
	s_and_saveexec_b64 s[10:11], vcc
	s_cbranch_execz .LBB4_537
; %bb.534:
	s_mov_b64 s[12:13], 0
.LBB4_535:                              ; =>This Inner Loop Header: Depth=1
	s_sleep 1
	global_load_dwordx2 v[3:4], v2, s[6:7] offset:40
	global_load_dwordx2 v[10:11], v2, s[6:7]
	v_mov_b32_e32 v5, v8
	v_mov_b32_e32 v6, v9
	s_waitcnt vmcnt(1)
	v_and_b32_e32 v3, v3, v5
	s_waitcnt vmcnt(0)
	v_mad_u64_u32 v[7:8], s[14:15], v3, 24, v[10:11]
	v_and_b32_e32 v4, v4, v6
	v_mov_b32_e32 v3, v8
	v_mad_u64_u32 v[3:4], s[14:15], v4, 24, v[3:4]
	v_mov_b32_e32 v8, v3
	global_load_dwordx2 v[3:4], v[7:8], off glc
	s_waitcnt vmcnt(0)
	global_atomic_cmpswap_x2 v[8:9], v2, v[3:6], s[6:7] offset:24 glc
	s_waitcnt vmcnt(0)
	buffer_wbinvl1_vol
	v_cmp_eq_u64_e32 vcc, v[8:9], v[5:6]
	s_or_b64 s[12:13], vcc, s[12:13]
	s_andn2_b64 exec, exec, s[12:13]
	s_cbranch_execnz .LBB4_535
; %bb.536:
	s_or_b64 exec, exec, s[12:13]
.LBB4_537:
	s_or_b64 exec, exec, s[10:11]
.LBB4_538:
	s_or_b64 exec, exec, s[8:9]
	s_waitcnt vmcnt(0)
	v_mov_b32_e32 v2, 0
	global_load_dwordx2 v[10:11], v2, s[6:7] offset:40
	global_load_dwordx4 v[4:7], v2, s[6:7]
	v_readfirstlane_b32 s9, v9
	v_readfirstlane_b32 s8, v8
	s_mov_b64 s[10:11], exec
	s_waitcnt vmcnt(1)
	v_readfirstlane_b32 s12, v10
	v_readfirstlane_b32 s13, v11
	s_and_b64 s[12:13], s[12:13], s[8:9]
	s_mul_i32 s14, s13, 24
	s_mul_hi_u32 s15, s12, 24
	s_mul_i32 s16, s12, 24
	s_add_i32 s14, s15, s14
	v_mov_b32_e32 v3, s14
	s_waitcnt vmcnt(0)
	v_add_co_u32_e32 v8, vcc, s16, v4
	v_addc_co_u32_e32 v9, vcc, v5, v3, vcc
	s_and_saveexec_b64 s[14:15], s[2:3]
	s_cbranch_execz .LBB4_540
; %bb.539:
	v_mov_b32_e32 v10, s10
	v_mov_b32_e32 v11, s11
	;; [unrolled: 1-line block ×4, first 2 shown]
	global_store_dwordx4 v[8:9], v[10:13], off offset:8
.LBB4_540:
	s_or_b64 exec, exec, s[14:15]
	s_lshl_b64 s[10:11], s[12:13], 12
	v_mov_b32_e32 v3, s11
	v_add_co_u32_e32 v10, vcc, s10, v6
	v_addc_co_u32_e32 v11, vcc, v7, v3, vcc
	s_movk_i32 s10, 0xff1f
	v_and_or_b32 v0, v0, s10, 32
	s_mov_b32 s12, 0
	v_mov_b32_e32 v3, v2
	v_readfirstlane_b32 s10, v10
	v_readfirstlane_b32 s11, v11
	v_add_co_u32_e32 v6, vcc, v10, v32
	s_mov_b32 s13, s12
	s_mov_b32 s14, s12
	;; [unrolled: 1-line block ×3, first 2 shown]
	s_nop 0
	global_store_dwordx4 v32, v[0:3], s[10:11]
	v_addc_co_u32_e32 v7, vcc, 0, v11, vcc
	v_mov_b32_e32 v0, s12
	v_mov_b32_e32 v1, s13
	;; [unrolled: 1-line block ×4, first 2 shown]
	global_store_dwordx4 v32, v[0:3], s[10:11] offset:16
	global_store_dwordx4 v32, v[0:3], s[10:11] offset:32
	;; [unrolled: 1-line block ×3, first 2 shown]
	s_and_saveexec_b64 s[10:11], s[2:3]
	s_cbranch_execz .LBB4_548
; %bb.541:
	v_mov_b32_e32 v10, 0
	global_load_dwordx2 v[13:14], v10, s[6:7] offset:32 glc
	global_load_dwordx2 v[0:1], v10, s[6:7] offset:40
	v_mov_b32_e32 v11, s8
	v_mov_b32_e32 v12, s9
	s_waitcnt vmcnt(0)
	v_readfirstlane_b32 s12, v0
	v_readfirstlane_b32 s13, v1
	s_and_b64 s[12:13], s[12:13], s[8:9]
	s_mul_i32 s13, s13, 24
	s_mul_hi_u32 s14, s12, 24
	s_mul_i32 s12, s12, 24
	s_add_i32 s13, s14, s13
	v_mov_b32_e32 v0, s13
	v_add_co_u32_e32 v4, vcc, s12, v4
	v_addc_co_u32_e32 v5, vcc, v5, v0, vcc
	global_store_dwordx2 v[4:5], v[13:14], off
	s_waitcnt vmcnt(0)
	global_atomic_cmpswap_x2 v[2:3], v10, v[11:14], s[6:7] offset:32 glc
	s_waitcnt vmcnt(0)
	v_cmp_ne_u64_e32 vcc, v[2:3], v[13:14]
	s_and_saveexec_b64 s[12:13], vcc
	s_cbranch_execz .LBB4_544
; %bb.542:
	s_mov_b64 s[14:15], 0
.LBB4_543:                              ; =>This Inner Loop Header: Depth=1
	s_sleep 1
	global_store_dwordx2 v[4:5], v[2:3], off
	v_mov_b32_e32 v0, s8
	v_mov_b32_e32 v1, s9
	s_waitcnt vmcnt(0)
	global_atomic_cmpswap_x2 v[0:1], v10, v[0:3], s[6:7] offset:32 glc
	s_waitcnt vmcnt(0)
	v_cmp_eq_u64_e32 vcc, v[0:1], v[2:3]
	v_mov_b32_e32 v3, v1
	s_or_b64 s[14:15], vcc, s[14:15]
	v_mov_b32_e32 v2, v0
	s_andn2_b64 exec, exec, s[14:15]
	s_cbranch_execnz .LBB4_543
.LBB4_544:
	s_or_b64 exec, exec, s[12:13]
	v_mov_b32_e32 v3, 0
	global_load_dwordx2 v[0:1], v3, s[6:7] offset:16
	s_mov_b64 s[12:13], exec
	v_mbcnt_lo_u32_b32 v2, s12, 0
	v_mbcnt_hi_u32_b32 v2, s13, v2
	v_cmp_eq_u32_e32 vcc, 0, v2
	s_and_saveexec_b64 s[14:15], vcc
	s_cbranch_execz .LBB4_546
; %bb.545:
	s_bcnt1_i32_b64 s12, s[12:13]
	v_mov_b32_e32 v2, s12
	s_waitcnt vmcnt(0)
	global_atomic_add_x2 v[0:1], v[2:3], off offset:8
.LBB4_546:
	s_or_b64 exec, exec, s[14:15]
	s_waitcnt vmcnt(0)
	global_load_dwordx2 v[2:3], v[0:1], off offset:16
	s_waitcnt vmcnt(0)
	v_cmp_eq_u64_e32 vcc, 0, v[2:3]
	s_cbranch_vccnz .LBB4_548
; %bb.547:
	global_load_dword v0, v[0:1], off offset:24
	v_mov_b32_e32 v1, 0
	s_waitcnt vmcnt(0)
	v_readfirstlane_b32 s12, v0
	s_and_b32 m0, s12, 0xffffff
	global_store_dwordx2 v[2:3], v[0:1], off
	s_sendmsg sendmsg(MSG_INTERRUPT)
.LBB4_548:
	s_or_b64 exec, exec, s[10:11]
	s_branch .LBB4_552
.LBB4_549:                              ;   in Loop: Header=BB4_552 Depth=1
	s_or_b64 exec, exec, s[10:11]
	v_readfirstlane_b32 s10, v0
	s_cmp_eq_u32 s10, 0
	s_cbranch_scc1 .LBB4_551
; %bb.550:                              ;   in Loop: Header=BB4_552 Depth=1
	s_sleep 1
	s_cbranch_execnz .LBB4_552
	s_branch .LBB4_554
.LBB4_551:
	s_branch .LBB4_554
.LBB4_552:                              ; =>This Inner Loop Header: Depth=1
	v_mov_b32_e32 v0, 1
	s_and_saveexec_b64 s[10:11], s[2:3]
	s_cbranch_execz .LBB4_549
; %bb.553:                              ;   in Loop: Header=BB4_552 Depth=1
	global_load_dword v0, v[8:9], off offset:20 glc
	s_waitcnt vmcnt(0)
	buffer_wbinvl1_vol
	v_and_b32_e32 v0, 1, v0
	s_branch .LBB4_549
.LBB4_554:
	global_load_dwordx2 v[2:3], v[6:7], off
	s_and_saveexec_b64 s[10:11], s[2:3]
	s_cbranch_execz .LBB4_557
; %bb.555:
	v_mov_b32_e32 v8, 0
	global_load_dwordx2 v[0:1], v8, s[6:7] offset:40
	global_load_dwordx2 v[11:12], v8, s[6:7] offset:24 glc
	global_load_dwordx2 v[4:5], v8, s[6:7]
	s_waitcnt vmcnt(2)
	v_readfirstlane_b32 s12, v0
	v_readfirstlane_b32 s13, v1
	s_add_u32 s14, s12, 1
	s_addc_u32 s15, s13, 0
	s_add_u32 s2, s14, s8
	s_addc_u32 s3, s15, s9
	s_cmp_eq_u64 s[2:3], 0
	s_cselect_b32 s3, s15, s3
	s_cselect_b32 s2, s14, s2
	s_and_b64 s[8:9], s[2:3], s[12:13]
	s_mul_i32 s9, s9, 24
	s_mul_hi_u32 s12, s8, 24
	s_mul_i32 s8, s8, 24
	s_add_i32 s9, s12, s9
	v_mov_b32_e32 v1, s9
	s_waitcnt vmcnt(0)
	v_add_co_u32_e32 v0, vcc, s8, v4
	v_addc_co_u32_e32 v1, vcc, v5, v1, vcc
	v_mov_b32_e32 v9, s2
	global_store_dwordx2 v[0:1], v[11:12], off
	v_mov_b32_e32 v10, s3
	s_waitcnt vmcnt(0)
	global_atomic_cmpswap_x2 v[6:7], v8, v[9:12], s[6:7] offset:24 glc
	s_mov_b64 s[8:9], 0
	s_waitcnt vmcnt(0)
	v_cmp_ne_u64_e32 vcc, v[6:7], v[11:12]
	s_and_b64 exec, exec, vcc
	s_cbranch_execz .LBB4_557
.LBB4_556:                              ; =>This Inner Loop Header: Depth=1
	s_sleep 1
	global_store_dwordx2 v[0:1], v[6:7], off
	v_mov_b32_e32 v4, s2
	v_mov_b32_e32 v5, s3
	s_waitcnt vmcnt(0)
	global_atomic_cmpswap_x2 v[4:5], v8, v[4:7], s[6:7] offset:24 glc
	s_waitcnt vmcnt(0)
	v_cmp_eq_u64_e32 vcc, v[4:5], v[6:7]
	v_mov_b32_e32 v7, v5
	s_or_b64 s[8:9], vcc, s[8:9]
	v_mov_b32_e32 v6, v4
	s_andn2_b64 exec, exec, s[8:9]
	s_cbranch_execnz .LBB4_556
.LBB4_557:
	s_or_b64 exec, exec, s[10:11]
.LBB4_558:
	v_readfirstlane_b32 s2, v33
	s_waitcnt vmcnt(0)
	v_mov_b32_e32 v0, 0
	v_mov_b32_e32 v1, 0
	v_cmp_eq_u32_e64 s[2:3], s2, v33
	s_and_saveexec_b64 s[8:9], s[2:3]
	s_cbranch_execz .LBB4_564
; %bb.559:
	v_mov_b32_e32 v4, 0
	global_load_dwordx2 v[7:8], v4, s[6:7] offset:24 glc
	s_waitcnt vmcnt(0)
	buffer_wbinvl1_vol
	global_load_dwordx2 v[0:1], v4, s[6:7] offset:40
	global_load_dwordx2 v[5:6], v4, s[6:7]
	s_waitcnt vmcnt(1)
	v_and_b32_e32 v0, v0, v7
	v_and_b32_e32 v1, v1, v8
	v_mul_lo_u32 v1, v1, 24
	v_mul_hi_u32 v9, v0, 24
	v_mul_lo_u32 v0, v0, 24
	v_add_u32_e32 v1, v9, v1
	s_waitcnt vmcnt(0)
	v_add_co_u32_e32 v0, vcc, v5, v0
	v_addc_co_u32_e32 v1, vcc, v6, v1, vcc
	global_load_dwordx2 v[5:6], v[0:1], off glc
	s_waitcnt vmcnt(0)
	global_atomic_cmpswap_x2 v[0:1], v4, v[5:8], s[6:7] offset:24 glc
	s_waitcnt vmcnt(0)
	buffer_wbinvl1_vol
	v_cmp_ne_u64_e32 vcc, v[0:1], v[7:8]
	s_and_saveexec_b64 s[10:11], vcc
	s_cbranch_execz .LBB4_563
; %bb.560:
	s_mov_b64 s[12:13], 0
.LBB4_561:                              ; =>This Inner Loop Header: Depth=1
	s_sleep 1
	global_load_dwordx2 v[5:6], v4, s[6:7] offset:40
	global_load_dwordx2 v[9:10], v4, s[6:7]
	v_mov_b32_e32 v8, v1
	v_mov_b32_e32 v7, v0
	s_waitcnt vmcnt(1)
	v_and_b32_e32 v0, v5, v7
	s_waitcnt vmcnt(0)
	v_mad_u64_u32 v[0:1], s[14:15], v0, 24, v[9:10]
	v_and_b32_e32 v5, v6, v8
	v_mad_u64_u32 v[5:6], s[14:15], v5, 24, v[1:2]
	v_mov_b32_e32 v1, v5
	global_load_dwordx2 v[5:6], v[0:1], off glc
	s_waitcnt vmcnt(0)
	global_atomic_cmpswap_x2 v[0:1], v4, v[5:8], s[6:7] offset:24 glc
	s_waitcnt vmcnt(0)
	buffer_wbinvl1_vol
	v_cmp_eq_u64_e32 vcc, v[0:1], v[7:8]
	s_or_b64 s[12:13], vcc, s[12:13]
	s_andn2_b64 exec, exec, s[12:13]
	s_cbranch_execnz .LBB4_561
; %bb.562:
	s_or_b64 exec, exec, s[12:13]
.LBB4_563:
	s_or_b64 exec, exec, s[10:11]
.LBB4_564:
	s_or_b64 exec, exec, s[8:9]
	v_mov_b32_e32 v5, 0
	global_load_dwordx2 v[10:11], v5, s[6:7] offset:40
	global_load_dwordx4 v[6:9], v5, s[6:7]
	v_readfirstlane_b32 s9, v1
	v_readfirstlane_b32 s8, v0
	s_mov_b64 s[10:11], exec
	s_waitcnt vmcnt(1)
	v_readfirstlane_b32 s12, v10
	v_readfirstlane_b32 s13, v11
	s_and_b64 s[12:13], s[12:13], s[8:9]
	s_mul_i32 s14, s13, 24
	s_mul_hi_u32 s15, s12, 24
	s_mul_i32 s16, s12, 24
	s_add_i32 s14, s15, s14
	v_mov_b32_e32 v0, s14
	s_waitcnt vmcnt(0)
	v_add_co_u32_e32 v10, vcc, s16, v6
	v_addc_co_u32_e32 v11, vcc, v7, v0, vcc
	s_and_saveexec_b64 s[14:15], s[2:3]
	s_cbranch_execz .LBB4_566
; %bb.565:
	v_mov_b32_e32 v13, s11
	v_mov_b32_e32 v12, s10
	;; [unrolled: 1-line block ×4, first 2 shown]
	global_store_dwordx4 v[10:11], v[12:15], off offset:8
.LBB4_566:
	s_or_b64 exec, exec, s[14:15]
	s_lshl_b64 s[10:11], s[12:13], 12
	v_mov_b32_e32 v0, s11
	v_add_co_u32_e32 v1, vcc, s10, v8
	v_addc_co_u32_e32 v0, vcc, v9, v0, vcc
	s_movk_i32 s10, 0xff1f
	v_and_or_b32 v2, v2, s10, 32
	v_add_co_u32_e32 v8, vcc, v1, v32
	s_mov_b32 s12, 0
	v_mov_b32_e32 v4, 7
	v_readfirstlane_b32 s10, v1
	v_readfirstlane_b32 s11, v0
	v_addc_co_u32_e32 v9, vcc, 0, v0, vcc
	s_mov_b32 s13, s12
	s_mov_b32 s14, s12
	;; [unrolled: 1-line block ×3, first 2 shown]
	s_nop 0
	global_store_dwordx4 v32, v[2:5], s[10:11]
	v_mov_b32_e32 v0, s12
	v_mov_b32_e32 v1, s13
	;; [unrolled: 1-line block ×4, first 2 shown]
	global_store_dwordx4 v32, v[0:3], s[10:11] offset:16
	global_store_dwordx4 v32, v[0:3], s[10:11] offset:32
	global_store_dwordx4 v32, v[0:3], s[10:11] offset:48
	s_and_saveexec_b64 s[10:11], s[2:3]
	s_cbranch_execz .LBB4_574
; %bb.567:
	v_mov_b32_e32 v12, 0
	global_load_dwordx2 v[15:16], v12, s[6:7] offset:32 glc
	global_load_dwordx2 v[0:1], v12, s[6:7] offset:40
	v_mov_b32_e32 v13, s8
	v_mov_b32_e32 v14, s9
	s_waitcnt vmcnt(0)
	v_readfirstlane_b32 s12, v0
	v_readfirstlane_b32 s13, v1
	s_and_b64 s[12:13], s[12:13], s[8:9]
	s_mul_i32 s13, s13, 24
	s_mul_hi_u32 s14, s12, 24
	s_mul_i32 s12, s12, 24
	s_add_i32 s13, s14, s13
	v_mov_b32_e32 v0, s13
	v_add_co_u32_e32 v4, vcc, s12, v6
	v_addc_co_u32_e32 v5, vcc, v7, v0, vcc
	global_store_dwordx2 v[4:5], v[15:16], off
	s_waitcnt vmcnt(0)
	global_atomic_cmpswap_x2 v[2:3], v12, v[13:16], s[6:7] offset:32 glc
	s_waitcnt vmcnt(0)
	v_cmp_ne_u64_e32 vcc, v[2:3], v[15:16]
	s_and_saveexec_b64 s[12:13], vcc
	s_cbranch_execz .LBB4_570
; %bb.568:
	s_mov_b64 s[14:15], 0
.LBB4_569:                              ; =>This Inner Loop Header: Depth=1
	s_sleep 1
	global_store_dwordx2 v[4:5], v[2:3], off
	v_mov_b32_e32 v0, s8
	v_mov_b32_e32 v1, s9
	s_waitcnt vmcnt(0)
	global_atomic_cmpswap_x2 v[0:1], v12, v[0:3], s[6:7] offset:32 glc
	s_waitcnt vmcnt(0)
	v_cmp_eq_u64_e32 vcc, v[0:1], v[2:3]
	v_mov_b32_e32 v3, v1
	s_or_b64 s[14:15], vcc, s[14:15]
	v_mov_b32_e32 v2, v0
	s_andn2_b64 exec, exec, s[14:15]
	s_cbranch_execnz .LBB4_569
.LBB4_570:
	s_or_b64 exec, exec, s[12:13]
	v_mov_b32_e32 v3, 0
	global_load_dwordx2 v[0:1], v3, s[6:7] offset:16
	s_mov_b64 s[12:13], exec
	v_mbcnt_lo_u32_b32 v2, s12, 0
	v_mbcnt_hi_u32_b32 v2, s13, v2
	v_cmp_eq_u32_e32 vcc, 0, v2
	s_and_saveexec_b64 s[14:15], vcc
	s_cbranch_execz .LBB4_572
; %bb.571:
	s_bcnt1_i32_b64 s12, s[12:13]
	v_mov_b32_e32 v2, s12
	s_waitcnt vmcnt(0)
	global_atomic_add_x2 v[0:1], v[2:3], off offset:8
.LBB4_572:
	s_or_b64 exec, exec, s[14:15]
	s_waitcnt vmcnt(0)
	global_load_dwordx2 v[2:3], v[0:1], off offset:16
	s_waitcnt vmcnt(0)
	v_cmp_eq_u64_e32 vcc, 0, v[2:3]
	s_cbranch_vccnz .LBB4_574
; %bb.573:
	global_load_dword v0, v[0:1], off offset:24
	v_mov_b32_e32 v1, 0
	s_waitcnt vmcnt(0)
	v_readfirstlane_b32 s12, v0
	s_and_b32 m0, s12, 0xffffff
	global_store_dwordx2 v[2:3], v[0:1], off
	s_sendmsg sendmsg(MSG_INTERRUPT)
.LBB4_574:
	s_or_b64 exec, exec, s[10:11]
	s_branch .LBB4_578
.LBB4_575:                              ;   in Loop: Header=BB4_578 Depth=1
	s_or_b64 exec, exec, s[10:11]
	v_readfirstlane_b32 s10, v0
	s_cmp_eq_u32 s10, 0
	s_cbranch_scc1 .LBB4_577
; %bb.576:                              ;   in Loop: Header=BB4_578 Depth=1
	s_sleep 1
	s_cbranch_execnz .LBB4_578
	s_branch .LBB4_580
.LBB4_577:
	s_branch .LBB4_580
.LBB4_578:                              ; =>This Inner Loop Header: Depth=1
	v_mov_b32_e32 v0, 1
	s_and_saveexec_b64 s[10:11], s[2:3]
	s_cbranch_execz .LBB4_575
; %bb.579:                              ;   in Loop: Header=BB4_578 Depth=1
	global_load_dword v0, v[10:11], off offset:20 glc
	s_waitcnt vmcnt(0)
	buffer_wbinvl1_vol
	v_and_b32_e32 v0, 1, v0
	s_branch .LBB4_575
.LBB4_580:
	global_load_dwordx2 v[0:1], v[8:9], off
	s_and_saveexec_b64 s[10:11], s[2:3]
	s_cbranch_execz .LBB4_583
; %bb.581:
	v_mov_b32_e32 v8, 0
	global_load_dwordx2 v[2:3], v8, s[6:7] offset:40
	global_load_dwordx2 v[11:12], v8, s[6:7] offset:24 glc
	global_load_dwordx2 v[4:5], v8, s[6:7]
	s_waitcnt vmcnt(2)
	v_readfirstlane_b32 s12, v2
	v_readfirstlane_b32 s13, v3
	s_add_u32 s14, s12, 1
	s_addc_u32 s15, s13, 0
	s_add_u32 s2, s14, s8
	s_addc_u32 s3, s15, s9
	s_cmp_eq_u64 s[2:3], 0
	s_cselect_b32 s3, s15, s3
	s_cselect_b32 s2, s14, s2
	s_and_b64 s[8:9], s[2:3], s[12:13]
	s_mul_i32 s9, s9, 24
	s_mul_hi_u32 s12, s8, 24
	s_mul_i32 s8, s8, 24
	s_add_i32 s9, s12, s9
	v_mov_b32_e32 v2, s9
	s_waitcnt vmcnt(0)
	v_add_co_u32_e32 v6, vcc, s8, v4
	v_addc_co_u32_e32 v7, vcc, v5, v2, vcc
	v_mov_b32_e32 v9, s2
	global_store_dwordx2 v[6:7], v[11:12], off
	v_mov_b32_e32 v10, s3
	s_waitcnt vmcnt(0)
	global_atomic_cmpswap_x2 v[4:5], v8, v[9:12], s[6:7] offset:24 glc
	s_mov_b64 s[8:9], 0
	s_waitcnt vmcnt(0)
	v_cmp_ne_u64_e32 vcc, v[4:5], v[11:12]
	s_and_b64 exec, exec, vcc
	s_cbranch_execz .LBB4_583
.LBB4_582:                              ; =>This Inner Loop Header: Depth=1
	s_sleep 1
	global_store_dwordx2 v[6:7], v[4:5], off
	v_mov_b32_e32 v2, s2
	v_mov_b32_e32 v3, s3
	s_waitcnt vmcnt(0)
	global_atomic_cmpswap_x2 v[2:3], v8, v[2:5], s[6:7] offset:24 glc
	s_waitcnt vmcnt(0)
	v_cmp_eq_u64_e32 vcc, v[2:3], v[4:5]
	v_mov_b32_e32 v5, v3
	s_or_b64 s[8:9], vcc, s[8:9]
	v_mov_b32_e32 v4, v2
	s_andn2_b64 exec, exec, s[8:9]
	s_cbranch_execnz .LBB4_582
.LBB4_583:
	s_or_b64 exec, exec, s[10:11]
	v_readfirstlane_b32 s2, v33
	v_mov_b32_e32 v8, 0
	v_mov_b32_e32 v9, 0
	v_cmp_eq_u32_e64 s[2:3], s2, v33
	s_and_saveexec_b64 s[8:9], s[2:3]
	s_cbranch_execz .LBB4_589
; %bb.584:
	v_mov_b32_e32 v2, 0
	global_load_dwordx2 v[5:6], v2, s[6:7] offset:24 glc
	s_waitcnt vmcnt(0)
	buffer_wbinvl1_vol
	global_load_dwordx2 v[3:4], v2, s[6:7] offset:40
	global_load_dwordx2 v[7:8], v2, s[6:7]
	s_waitcnt vmcnt(1)
	v_and_b32_e32 v3, v3, v5
	v_and_b32_e32 v4, v4, v6
	v_mul_lo_u32 v4, v4, 24
	v_mul_hi_u32 v9, v3, 24
	v_mul_lo_u32 v3, v3, 24
	v_add_u32_e32 v4, v9, v4
	s_waitcnt vmcnt(0)
	v_add_co_u32_e32 v3, vcc, v7, v3
	v_addc_co_u32_e32 v4, vcc, v8, v4, vcc
	global_load_dwordx2 v[3:4], v[3:4], off glc
	s_waitcnt vmcnt(0)
	global_atomic_cmpswap_x2 v[8:9], v2, v[3:6], s[6:7] offset:24 glc
	s_waitcnt vmcnt(0)
	buffer_wbinvl1_vol
	v_cmp_ne_u64_e32 vcc, v[8:9], v[5:6]
	s_and_saveexec_b64 s[10:11], vcc
	s_cbranch_execz .LBB4_588
; %bb.585:
	s_mov_b64 s[12:13], 0
.LBB4_586:                              ; =>This Inner Loop Header: Depth=1
	s_sleep 1
	global_load_dwordx2 v[3:4], v2, s[6:7] offset:40
	global_load_dwordx2 v[10:11], v2, s[6:7]
	v_mov_b32_e32 v5, v8
	v_mov_b32_e32 v6, v9
	s_waitcnt vmcnt(1)
	v_and_b32_e32 v3, v3, v5
	s_waitcnt vmcnt(0)
	v_mad_u64_u32 v[7:8], s[14:15], v3, 24, v[10:11]
	v_and_b32_e32 v4, v4, v6
	v_mov_b32_e32 v3, v8
	v_mad_u64_u32 v[3:4], s[14:15], v4, 24, v[3:4]
	v_mov_b32_e32 v8, v3
	global_load_dwordx2 v[3:4], v[7:8], off glc
	s_waitcnt vmcnt(0)
	global_atomic_cmpswap_x2 v[8:9], v2, v[3:6], s[6:7] offset:24 glc
	s_waitcnt vmcnt(0)
	buffer_wbinvl1_vol
	v_cmp_eq_u64_e32 vcc, v[8:9], v[5:6]
	s_or_b64 s[12:13], vcc, s[12:13]
	s_andn2_b64 exec, exec, s[12:13]
	s_cbranch_execnz .LBB4_586
; %bb.587:
	s_or_b64 exec, exec, s[12:13]
.LBB4_588:
	s_or_b64 exec, exec, s[10:11]
.LBB4_589:
	s_or_b64 exec, exec, s[8:9]
	v_mov_b32_e32 v3, 0
	global_load_dwordx2 v[10:11], v3, s[6:7] offset:40
	global_load_dwordx4 v[4:7], v3, s[6:7]
	v_readfirstlane_b32 s9, v9
	v_readfirstlane_b32 s8, v8
	s_mov_b64 s[10:11], exec
	s_waitcnt vmcnt(1)
	v_readfirstlane_b32 s12, v10
	v_readfirstlane_b32 s13, v11
	s_and_b64 s[12:13], s[12:13], s[8:9]
	s_mul_i32 s14, s13, 24
	s_mul_hi_u32 s15, s12, 24
	s_mul_i32 s16, s12, 24
	s_add_i32 s14, s15, s14
	v_mov_b32_e32 v2, s14
	s_waitcnt vmcnt(0)
	v_add_co_u32_e32 v8, vcc, s16, v4
	v_addc_co_u32_e32 v9, vcc, v5, v2, vcc
	s_and_saveexec_b64 s[14:15], s[2:3]
	s_cbranch_execz .LBB4_591
; %bb.590:
	v_mov_b32_e32 v10, s10
	v_mov_b32_e32 v11, s11
	v_mov_b32_e32 v12, 2
	v_mov_b32_e32 v13, 1
	global_store_dwordx4 v[8:9], v[10:13], off offset:8
.LBB4_591:
	s_or_b64 exec, exec, s[14:15]
	s_lshl_b64 s[10:11], s[12:13], 12
	v_mov_b32_e32 v2, s11
	v_add_co_u32_e32 v6, vcc, s10, v6
	v_addc_co_u32_e32 v7, vcc, v7, v2, vcc
	s_mov_b32 s12, 0
	v_cndmask_b32_e64 v2, -1, v31, s[0:1]
	s_movk_i32 s0, 0xff1f
	v_add_co_u32_e32 v10, vcc, v6, v32
	s_mov_b32 s13, s12
	s_mov_b32 s14, s12
	;; [unrolled: 1-line block ×3, first 2 shown]
	v_mov_b32_e32 v12, s12
	v_and_or_b32 v0, v0, s0, 32
	v_addc_co_u32_e32 v11, vcc, 0, v7, vcc
	v_readfirstlane_b32 s0, v6
	v_readfirstlane_b32 s1, v7
	v_mov_b32_e32 v13, s13
	v_mov_b32_e32 v14, s14
	;; [unrolled: 1-line block ×3, first 2 shown]
	s_nop 1
	global_store_dwordx4 v32, v[0:3], s[0:1]
	global_store_dwordx4 v32, v[12:15], s[0:1] offset:16
	global_store_dwordx4 v32, v[12:15], s[0:1] offset:32
	;; [unrolled: 1-line block ×3, first 2 shown]
	s_and_saveexec_b64 s[0:1], s[2:3]
	s_cbranch_execz .LBB4_599
; %bb.592:
	v_mov_b32_e32 v7, 0
	global_load_dwordx2 v[14:15], v7, s[6:7] offset:32 glc
	global_load_dwordx2 v[0:1], v7, s[6:7] offset:40
	v_mov_b32_e32 v12, s8
	v_mov_b32_e32 v13, s9
	s_waitcnt vmcnt(0)
	v_readfirstlane_b32 s10, v0
	v_readfirstlane_b32 s11, v1
	s_and_b64 s[10:11], s[10:11], s[8:9]
	s_mul_i32 s11, s11, 24
	s_mul_hi_u32 s12, s10, 24
	s_mul_i32 s10, s10, 24
	s_add_i32 s11, s12, s11
	v_mov_b32_e32 v1, s11
	v_add_co_u32_e32 v0, vcc, s10, v4
	v_addc_co_u32_e32 v1, vcc, v5, v1, vcc
	global_store_dwordx2 v[0:1], v[14:15], off
	s_waitcnt vmcnt(0)
	global_atomic_cmpswap_x2 v[5:6], v7, v[12:15], s[6:7] offset:32 glc
	s_waitcnt vmcnt(0)
	v_cmp_ne_u64_e32 vcc, v[5:6], v[14:15]
	s_and_saveexec_b64 s[10:11], vcc
	s_cbranch_execz .LBB4_595
; %bb.593:
	s_mov_b64 s[12:13], 0
.LBB4_594:                              ; =>This Inner Loop Header: Depth=1
	s_sleep 1
	global_store_dwordx2 v[0:1], v[5:6], off
	v_mov_b32_e32 v3, s8
	v_mov_b32_e32 v4, s9
	s_waitcnt vmcnt(0)
	global_atomic_cmpswap_x2 v[3:4], v7, v[3:6], s[6:7] offset:32 glc
	s_waitcnt vmcnt(0)
	v_cmp_eq_u64_e32 vcc, v[3:4], v[5:6]
	v_mov_b32_e32 v6, v4
	s_or_b64 s[12:13], vcc, s[12:13]
	v_mov_b32_e32 v5, v3
	s_andn2_b64 exec, exec, s[12:13]
	s_cbranch_execnz .LBB4_594
.LBB4_595:
	s_or_b64 exec, exec, s[10:11]
	v_mov_b32_e32 v4, 0
	global_load_dwordx2 v[0:1], v4, s[6:7] offset:16
	s_mov_b64 s[10:11], exec
	v_mbcnt_lo_u32_b32 v3, s10, 0
	v_mbcnt_hi_u32_b32 v3, s11, v3
	v_cmp_eq_u32_e32 vcc, 0, v3
	s_and_saveexec_b64 s[12:13], vcc
	s_cbranch_execz .LBB4_597
; %bb.596:
	s_bcnt1_i32_b64 s10, s[10:11]
	v_mov_b32_e32 v3, s10
	s_waitcnt vmcnt(0)
	global_atomic_add_x2 v[0:1], v[3:4], off offset:8
.LBB4_597:
	s_or_b64 exec, exec, s[12:13]
	s_waitcnt vmcnt(0)
	global_load_dwordx2 v[3:4], v[0:1], off offset:16
	s_waitcnt vmcnt(0)
	v_cmp_eq_u64_e32 vcc, 0, v[3:4]
	s_cbranch_vccnz .LBB4_599
; %bb.598:
	global_load_dword v0, v[0:1], off offset:24
	v_mov_b32_e32 v1, 0
	s_waitcnt vmcnt(0)
	v_readfirstlane_b32 s10, v0
	s_and_b32 m0, s10, 0xffffff
	global_store_dwordx2 v[3:4], v[0:1], off
	s_sendmsg sendmsg(MSG_INTERRUPT)
.LBB4_599:
	s_or_b64 exec, exec, s[0:1]
	s_branch .LBB4_603
.LBB4_600:                              ;   in Loop: Header=BB4_603 Depth=1
	s_or_b64 exec, exec, s[0:1]
	v_readfirstlane_b32 s0, v0
	s_cmp_eq_u32 s0, 0
	s_cbranch_scc1 .LBB4_602
; %bb.601:                              ;   in Loop: Header=BB4_603 Depth=1
	s_sleep 1
	s_cbranch_execnz .LBB4_603
	s_branch .LBB4_605
.LBB4_602:
	s_branch .LBB4_605
.LBB4_603:                              ; =>This Inner Loop Header: Depth=1
	v_mov_b32_e32 v0, 1
	s_and_saveexec_b64 s[0:1], s[2:3]
	s_cbranch_execz .LBB4_600
; %bb.604:                              ;   in Loop: Header=BB4_603 Depth=1
	global_load_dword v0, v[8:9], off offset:20 glc
	s_waitcnt vmcnt(0)
	buffer_wbinvl1_vol
	v_and_b32_e32 v0, 1, v0
	s_branch .LBB4_600
.LBB4_605:
	global_load_dwordx2 v[3:4], v[10:11], off
	s_and_saveexec_b64 s[0:1], s[2:3]
	s_cbranch_execz .LBB4_608
; %bb.606:
	v_mov_b32_e32 v9, 0
	global_load_dwordx2 v[0:1], v9, s[6:7] offset:40
	global_load_dwordx2 v[12:13], v9, s[6:7] offset:24 glc
	global_load_dwordx2 v[5:6], v9, s[6:7]
	s_waitcnt vmcnt(2)
	v_readfirstlane_b32 s10, v0
	v_readfirstlane_b32 s11, v1
	s_add_u32 s12, s10, 1
	s_addc_u32 s13, s11, 0
	s_add_u32 s2, s12, s8
	s_addc_u32 s3, s13, s9
	s_cmp_eq_u64 s[2:3], 0
	s_cselect_b32 s3, s13, s3
	s_cselect_b32 s2, s12, s2
	s_and_b64 s[8:9], s[2:3], s[10:11]
	s_mul_i32 s9, s9, 24
	s_mul_hi_u32 s10, s8, 24
	s_mul_i32 s8, s8, 24
	s_add_i32 s9, s10, s9
	v_mov_b32_e32 v1, s9
	s_waitcnt vmcnt(0)
	v_add_co_u32_e32 v0, vcc, s8, v5
	v_addc_co_u32_e32 v1, vcc, v6, v1, vcc
	v_mov_b32_e32 v10, s2
	global_store_dwordx2 v[0:1], v[12:13], off
	v_mov_b32_e32 v11, s3
	s_waitcnt vmcnt(0)
	global_atomic_cmpswap_x2 v[7:8], v9, v[10:13], s[6:7] offset:24 glc
	s_mov_b64 s[8:9], 0
	s_waitcnt vmcnt(0)
	v_cmp_ne_u64_e32 vcc, v[7:8], v[12:13]
	s_and_b64 exec, exec, vcc
	s_cbranch_execz .LBB4_608
.LBB4_607:                              ; =>This Inner Loop Header: Depth=1
	s_sleep 1
	global_store_dwordx2 v[0:1], v[7:8], off
	v_mov_b32_e32 v5, s2
	v_mov_b32_e32 v6, s3
	s_waitcnt vmcnt(0)
	global_atomic_cmpswap_x2 v[5:6], v9, v[5:8], s[6:7] offset:24 glc
	s_waitcnt vmcnt(0)
	v_cmp_eq_u64_e32 vcc, v[5:6], v[7:8]
	v_mov_b32_e32 v8, v6
	s_or_b64 s[8:9], vcc, s[8:9]
	v_mov_b32_e32 v7, v5
	s_andn2_b64 exec, exec, s[8:9]
	s_cbranch_execnz .LBB4_607
.LBB4_608:
	s_or_b64 exec, exec, s[0:1]
	v_readfirstlane_b32 s0, v33
	v_mov_b32_e32 v0, 0
	v_mov_b32_e32 v1, 0
	v_cmp_eq_u32_e64 s[0:1], s0, v33
	s_and_saveexec_b64 s[2:3], s[0:1]
	s_cbranch_execz .LBB4_614
; %bb.609:
	v_mov_b32_e32 v5, 0
	global_load_dwordx2 v[8:9], v5, s[6:7] offset:24 glc
	s_waitcnt vmcnt(0)
	buffer_wbinvl1_vol
	global_load_dwordx2 v[0:1], v5, s[6:7] offset:40
	global_load_dwordx2 v[6:7], v5, s[6:7]
	s_waitcnt vmcnt(1)
	v_and_b32_e32 v0, v0, v8
	v_and_b32_e32 v1, v1, v9
	v_mul_lo_u32 v1, v1, 24
	v_mul_hi_u32 v10, v0, 24
	v_mul_lo_u32 v0, v0, 24
	v_add_u32_e32 v1, v10, v1
	s_waitcnt vmcnt(0)
	v_add_co_u32_e32 v0, vcc, v6, v0
	v_addc_co_u32_e32 v1, vcc, v7, v1, vcc
	global_load_dwordx2 v[6:7], v[0:1], off glc
	s_waitcnt vmcnt(0)
	global_atomic_cmpswap_x2 v[0:1], v5, v[6:9], s[6:7] offset:24 glc
	s_waitcnt vmcnt(0)
	buffer_wbinvl1_vol
	v_cmp_ne_u64_e32 vcc, v[0:1], v[8:9]
	s_and_saveexec_b64 s[8:9], vcc
	s_cbranch_execz .LBB4_613
; %bb.610:
	s_mov_b64 s[10:11], 0
.LBB4_611:                              ; =>This Inner Loop Header: Depth=1
	s_sleep 1
	global_load_dwordx2 v[6:7], v5, s[6:7] offset:40
	global_load_dwordx2 v[10:11], v5, s[6:7]
	v_mov_b32_e32 v9, v1
	v_mov_b32_e32 v8, v0
	s_waitcnt vmcnt(1)
	v_and_b32_e32 v0, v6, v8
	s_waitcnt vmcnt(0)
	v_mad_u64_u32 v[0:1], s[12:13], v0, 24, v[10:11]
	v_and_b32_e32 v6, v7, v9
	v_mad_u64_u32 v[6:7], s[12:13], v6, 24, v[1:2]
	v_mov_b32_e32 v1, v6
	global_load_dwordx2 v[6:7], v[0:1], off glc
	s_waitcnt vmcnt(0)
	global_atomic_cmpswap_x2 v[0:1], v5, v[6:9], s[6:7] offset:24 glc
	s_waitcnt vmcnt(0)
	buffer_wbinvl1_vol
	v_cmp_eq_u64_e32 vcc, v[0:1], v[8:9]
	s_or_b64 s[10:11], vcc, s[10:11]
	s_andn2_b64 exec, exec, s[10:11]
	s_cbranch_execnz .LBB4_611
; %bb.612:
	s_or_b64 exec, exec, s[10:11]
.LBB4_613:
	s_or_b64 exec, exec, s[8:9]
.LBB4_614:
	s_or_b64 exec, exec, s[2:3]
	v_mov_b32_e32 v6, 0
	global_load_dwordx2 v[11:12], v6, s[6:7] offset:40
	global_load_dwordx4 v[7:10], v6, s[6:7]
	v_readfirstlane_b32 s3, v1
	v_readfirstlane_b32 s2, v0
	s_mov_b64 s[8:9], exec
	s_waitcnt vmcnt(1)
	v_readfirstlane_b32 s10, v11
	v_readfirstlane_b32 s11, v12
	s_and_b64 s[10:11], s[10:11], s[2:3]
	s_mul_i32 s12, s11, 24
	s_mul_hi_u32 s13, s10, 24
	s_mul_i32 s14, s10, 24
	s_add_i32 s12, s13, s12
	v_mov_b32_e32 v1, s12
	s_waitcnt vmcnt(0)
	v_add_co_u32_e32 v0, vcc, s14, v7
	v_addc_co_u32_e32 v1, vcc, v8, v1, vcc
	s_and_saveexec_b64 s[12:13], s[0:1]
	s_cbranch_execz .LBB4_616
; %bb.615:
	v_mov_b32_e32 v12, s9
	v_mov_b32_e32 v11, s8
	;; [unrolled: 1-line block ×4, first 2 shown]
	global_store_dwordx4 v[0:1], v[11:14], off offset:8
.LBB4_616:
	s_or_b64 exec, exec, s[12:13]
	s_lshl_b64 s[8:9], s[10:11], 12
	v_mov_b32_e32 v5, s9
	v_add_co_u32_e32 v9, vcc, s8, v9
	s_movk_i32 s8, 0xff1f
	v_addc_co_u32_e32 v12, vcc, v10, v5, vcc
	v_and_or_b32 v3, v3, s8, 32
	s_mov_b32 s8, 0
	v_add_co_u32_e32 v10, vcc, v9, v32
	s_mov_b32 s11, s8
	v_addc_co_u32_e32 v11, vcc, 0, v12, vcc
	v_readfirstlane_b32 s13, v12
	s_mov_b32 s9, s8
	s_mov_b32 s10, s8
	v_mov_b32_e32 v15, s11
	v_lshrrev_b32_e32 v5, 3, v26
	v_readfirstlane_b32 s12, v9
	v_mov_b32_e32 v14, s10
	v_mov_b32_e32 v13, s9
	;; [unrolled: 1-line block ×3, first 2 shown]
	s_nop 1
	global_store_dwordx4 v32, v[3:6], s[12:13]
	global_store_dwordx4 v32, v[12:15], s[12:13] offset:16
	global_store_dwordx4 v32, v[12:15], s[12:13] offset:32
	;; [unrolled: 1-line block ×3, first 2 shown]
	s_and_saveexec_b64 s[8:9], s[0:1]
	s_cbranch_execz .LBB4_624
; %bb.617:
	v_mov_b32_e32 v12, 0
	global_load_dwordx2 v[15:16], v12, s[6:7] offset:32 glc
	global_load_dwordx2 v[3:4], v12, s[6:7] offset:40
	v_mov_b32_e32 v13, s2
	v_mov_b32_e32 v14, s3
	s_waitcnt vmcnt(0)
	v_readfirstlane_b32 s10, v3
	v_readfirstlane_b32 s11, v4
	s_and_b64 s[10:11], s[10:11], s[2:3]
	s_mul_i32 s11, s11, 24
	s_mul_hi_u32 s12, s10, 24
	s_mul_i32 s10, s10, 24
	s_add_i32 s11, s12, s11
	v_mov_b32_e32 v4, s11
	v_add_co_u32_e32 v3, vcc, s10, v7
	v_addc_co_u32_e32 v4, vcc, v8, v4, vcc
	global_store_dwordx2 v[3:4], v[15:16], off
	s_waitcnt vmcnt(0)
	global_atomic_cmpswap_x2 v[8:9], v12, v[13:16], s[6:7] offset:32 glc
	s_waitcnt vmcnt(0)
	v_cmp_ne_u64_e32 vcc, v[8:9], v[15:16]
	s_and_saveexec_b64 s[10:11], vcc
	s_cbranch_execz .LBB4_620
; %bb.618:
	s_mov_b64 s[12:13], 0
.LBB4_619:                              ; =>This Inner Loop Header: Depth=1
	s_sleep 1
	global_store_dwordx2 v[3:4], v[8:9], off
	v_mov_b32_e32 v6, s2
	v_mov_b32_e32 v7, s3
	s_waitcnt vmcnt(0)
	global_atomic_cmpswap_x2 v[6:7], v12, v[6:9], s[6:7] offset:32 glc
	s_waitcnt vmcnt(0)
	v_cmp_eq_u64_e32 vcc, v[6:7], v[8:9]
	v_mov_b32_e32 v9, v7
	s_or_b64 s[12:13], vcc, s[12:13]
	v_mov_b32_e32 v8, v6
	s_andn2_b64 exec, exec, s[12:13]
	s_cbranch_execnz .LBB4_619
.LBB4_620:
	s_or_b64 exec, exec, s[10:11]
	v_mov_b32_e32 v7, 0
	global_load_dwordx2 v[3:4], v7, s[6:7] offset:16
	s_mov_b64 s[10:11], exec
	v_mbcnt_lo_u32_b32 v6, s10, 0
	v_mbcnt_hi_u32_b32 v6, s11, v6
	v_cmp_eq_u32_e32 vcc, 0, v6
	s_and_saveexec_b64 s[12:13], vcc
	s_cbranch_execz .LBB4_622
; %bb.621:
	s_bcnt1_i32_b64 s10, s[10:11]
	v_mov_b32_e32 v6, s10
	s_waitcnt vmcnt(0)
	global_atomic_add_x2 v[3:4], v[6:7], off offset:8
.LBB4_622:
	s_or_b64 exec, exec, s[12:13]
	s_waitcnt vmcnt(0)
	global_load_dwordx2 v[6:7], v[3:4], off offset:16
	s_waitcnt vmcnt(0)
	v_cmp_eq_u64_e32 vcc, 0, v[6:7]
	s_cbranch_vccnz .LBB4_624
; %bb.623:
	global_load_dword v3, v[3:4], off offset:24
	v_mov_b32_e32 v4, 0
	s_waitcnt vmcnt(0)
	v_readfirstlane_b32 s10, v3
	s_and_b32 m0, s10, 0xffffff
	global_store_dwordx2 v[6:7], v[3:4], off
	s_sendmsg sendmsg(MSG_INTERRUPT)
.LBB4_624:
	s_or_b64 exec, exec, s[8:9]
	s_branch .LBB4_628
.LBB4_625:                              ;   in Loop: Header=BB4_628 Depth=1
	s_or_b64 exec, exec, s[8:9]
	v_readfirstlane_b32 s8, v3
	s_cmp_eq_u32 s8, 0
	s_cbranch_scc1 .LBB4_627
; %bb.626:                              ;   in Loop: Header=BB4_628 Depth=1
	s_sleep 1
	s_cbranch_execnz .LBB4_628
	s_branch .LBB4_630
.LBB4_627:
	s_branch .LBB4_630
.LBB4_628:                              ; =>This Inner Loop Header: Depth=1
	v_mov_b32_e32 v3, 1
	s_and_saveexec_b64 s[8:9], s[0:1]
	s_cbranch_execz .LBB4_625
; %bb.629:                              ;   in Loop: Header=BB4_628 Depth=1
	global_load_dword v3, v[0:1], off offset:20 glc
	s_waitcnt vmcnt(0)
	buffer_wbinvl1_vol
	v_and_b32_e32 v3, 1, v3
	s_branch .LBB4_625
.LBB4_630:
	global_load_dwordx2 v[6:7], v[10:11], off
	s_and_saveexec_b64 s[8:9], s[0:1]
	s_cbranch_execz .LBB4_633
; %bb.631:
	v_mov_b32_e32 v3, 0
	global_load_dwordx2 v[0:1], v3, s[6:7] offset:40
	global_load_dwordx2 v[12:13], v3, s[6:7] offset:24 glc
	global_load_dwordx2 v[8:9], v3, s[6:7]
	s_waitcnt vmcnt(2)
	v_readfirstlane_b32 s10, v0
	v_readfirstlane_b32 s11, v1
	s_add_u32 s12, s10, 1
	s_addc_u32 s13, s11, 0
	s_add_u32 s0, s12, s2
	s_addc_u32 s1, s13, s3
	s_cmp_eq_u64 s[0:1], 0
	s_cselect_b32 s1, s13, s1
	s_cselect_b32 s0, s12, s0
	s_and_b64 s[2:3], s[0:1], s[10:11]
	s_mul_i32 s3, s3, 24
	s_mul_hi_u32 s10, s2, 24
	s_mul_i32 s2, s2, 24
	s_add_i32 s3, s10, s3
	v_mov_b32_e32 v1, s3
	s_waitcnt vmcnt(0)
	v_add_co_u32_e32 v0, vcc, s2, v8
	v_addc_co_u32_e32 v1, vcc, v9, v1, vcc
	v_mov_b32_e32 v10, s0
	global_store_dwordx2 v[0:1], v[12:13], off
	v_mov_b32_e32 v11, s1
	s_waitcnt vmcnt(0)
	global_atomic_cmpswap_x2 v[10:11], v3, v[10:13], s[6:7] offset:24 glc
	s_mov_b64 s[2:3], 0
	s_waitcnt vmcnt(0)
	v_cmp_ne_u64_e32 vcc, v[10:11], v[12:13]
	s_and_b64 exec, exec, vcc
	s_cbranch_execz .LBB4_633
.LBB4_632:                              ; =>This Inner Loop Header: Depth=1
	s_sleep 1
	global_store_dwordx2 v[0:1], v[10:11], off
	v_mov_b32_e32 v8, s0
	v_mov_b32_e32 v9, s1
	s_waitcnt vmcnt(0)
	global_atomic_cmpswap_x2 v[8:9], v3, v[8:11], s[6:7] offset:24 glc
	s_waitcnt vmcnt(0)
	v_cmp_eq_u64_e32 vcc, v[8:9], v[10:11]
	v_mov_b32_e32 v11, v9
	s_or_b64 s[2:3], vcc, s[2:3]
	v_mov_b32_e32 v10, v8
	s_andn2_b64 exec, exec, s[2:3]
	s_cbranch_execnz .LBB4_632
.LBB4_633:
	s_or_b64 exec, exec, s[8:9]
	v_readfirstlane_b32 s0, v33
	v_mov_b32_e32 v0, 0
	v_mov_b32_e32 v1, 0
	v_cmp_eq_u32_e64 s[0:1], s0, v33
	s_and_saveexec_b64 s[2:3], s[0:1]
	s_cbranch_execz .LBB4_639
; %bb.634:
	v_mov_b32_e32 v3, 0
	global_load_dwordx2 v[10:11], v3, s[6:7] offset:24 glc
	s_waitcnt vmcnt(0)
	buffer_wbinvl1_vol
	global_load_dwordx2 v[0:1], v3, s[6:7] offset:40
	global_load_dwordx2 v[8:9], v3, s[6:7]
	s_waitcnt vmcnt(1)
	v_and_b32_e32 v0, v0, v10
	v_and_b32_e32 v1, v1, v11
	v_mul_lo_u32 v1, v1, 24
	v_mul_hi_u32 v4, v0, 24
	v_mul_lo_u32 v0, v0, 24
	v_add_u32_e32 v1, v4, v1
	s_waitcnt vmcnt(0)
	v_add_co_u32_e32 v0, vcc, v8, v0
	v_addc_co_u32_e32 v1, vcc, v9, v1, vcc
	global_load_dwordx2 v[8:9], v[0:1], off glc
	s_waitcnt vmcnt(0)
	global_atomic_cmpswap_x2 v[0:1], v3, v[8:11], s[6:7] offset:24 glc
	s_waitcnt vmcnt(0)
	buffer_wbinvl1_vol
	v_cmp_ne_u64_e32 vcc, v[0:1], v[10:11]
	s_and_saveexec_b64 s[8:9], vcc
	s_cbranch_execz .LBB4_638
; %bb.635:
	s_mov_b64 s[10:11], 0
.LBB4_636:                              ; =>This Inner Loop Header: Depth=1
	s_sleep 1
	global_load_dwordx2 v[8:9], v3, s[6:7] offset:40
	global_load_dwordx2 v[12:13], v3, s[6:7]
	v_mov_b32_e32 v11, v1
	v_mov_b32_e32 v10, v0
	s_waitcnt vmcnt(1)
	v_and_b32_e32 v0, v8, v10
	s_waitcnt vmcnt(0)
	v_mad_u64_u32 v[0:1], s[12:13], v0, 24, v[12:13]
	v_and_b32_e32 v4, v9, v11
	v_mad_u64_u32 v[8:9], s[12:13], v4, 24, v[1:2]
	v_mov_b32_e32 v1, v8
	global_load_dwordx2 v[8:9], v[0:1], off glc
	s_waitcnt vmcnt(0)
	global_atomic_cmpswap_x2 v[0:1], v3, v[8:11], s[6:7] offset:24 glc
	s_waitcnt vmcnt(0)
	buffer_wbinvl1_vol
	v_cmp_eq_u64_e32 vcc, v[0:1], v[10:11]
	s_or_b64 s[10:11], vcc, s[10:11]
	s_andn2_b64 exec, exec, s[10:11]
	s_cbranch_execnz .LBB4_636
; %bb.637:
	s_or_b64 exec, exec, s[10:11]
.LBB4_638:
	s_or_b64 exec, exec, s[8:9]
.LBB4_639:
	s_or_b64 exec, exec, s[2:3]
	v_mov_b32_e32 v9, 0
	global_load_dwordx2 v[3:4], v9, s[6:7] offset:40
	global_load_dwordx4 v[10:13], v9, s[6:7]
	v_readfirstlane_b32 s3, v1
	v_readfirstlane_b32 s2, v0
	s_mov_b64 s[8:9], exec
	s_waitcnt vmcnt(1)
	v_readfirstlane_b32 s10, v3
	v_readfirstlane_b32 s11, v4
	s_and_b64 s[10:11], s[10:11], s[2:3]
	s_mul_i32 s12, s11, 24
	s_mul_hi_u32 s13, s10, 24
	s_mul_i32 s14, s10, 24
	s_add_i32 s12, s13, s12
	v_mov_b32_e32 v1, s12
	s_waitcnt vmcnt(0)
	v_add_co_u32_e32 v0, vcc, s14, v10
	v_addc_co_u32_e32 v1, vcc, v11, v1, vcc
	s_and_saveexec_b64 s[12:13], s[0:1]
	s_cbranch_execz .LBB4_641
; %bb.640:
	v_mov_b32_e32 v15, s9
	v_mov_b32_e32 v14, s8
	;; [unrolled: 1-line block ×4, first 2 shown]
	global_store_dwordx4 v[0:1], v[14:17], off offset:8
.LBB4_641:
	s_or_b64 exec, exec, s[12:13]
	s_lshl_b64 s[8:9], s[10:11], 12
	v_mov_b32_e32 v3, s9
	v_add_co_u32_e32 v4, vcc, s8, v12
	s_add_i32 s26, s26, 7
	v_addc_co_u32_e32 v3, vcc, v13, v3, vcc
	s_lshr_b32 s9, s26, 3
	s_movk_i32 s10, 0xff1d
	s_mov_b32 s8, 0
	v_and_or_b32 v6, v6, s10, 34
	v_mov_b32_e32 v8, s9
	v_readfirstlane_b32 s12, v4
	v_readfirstlane_b32 s13, v3
	s_mov_b32 s9, s8
	s_mov_b32 s10, s8
	;; [unrolled: 1-line block ×3, first 2 shown]
	s_nop 1
	global_store_dwordx4 v32, v[6:9], s[12:13]
	s_nop 0
	v_mov_b32_e32 v6, s8
	v_mov_b32_e32 v7, s9
	;; [unrolled: 1-line block ×4, first 2 shown]
	global_store_dwordx4 v32, v[6:9], s[12:13] offset:16
	global_store_dwordx4 v32, v[6:9], s[12:13] offset:32
	;; [unrolled: 1-line block ×3, first 2 shown]
	s_and_saveexec_b64 s[8:9], s[0:1]
	s_cbranch_execz .LBB4_649
; %bb.642:
	v_mov_b32_e32 v12, 0
	global_load_dwordx2 v[15:16], v12, s[6:7] offset:32 glc
	global_load_dwordx2 v[3:4], v12, s[6:7] offset:40
	v_mov_b32_e32 v13, s2
	v_mov_b32_e32 v14, s3
	s_waitcnt vmcnt(0)
	v_readfirstlane_b32 s10, v3
	v_readfirstlane_b32 s11, v4
	s_and_b64 s[10:11], s[10:11], s[2:3]
	s_mul_i32 s11, s11, 24
	s_mul_hi_u32 s12, s10, 24
	s_mul_i32 s10, s10, 24
	s_add_i32 s11, s12, s11
	v_mov_b32_e32 v4, s11
	v_add_co_u32_e32 v3, vcc, s10, v10
	v_addc_co_u32_e32 v4, vcc, v11, v4, vcc
	global_store_dwordx2 v[3:4], v[15:16], off
	s_waitcnt vmcnt(0)
	global_atomic_cmpswap_x2 v[8:9], v12, v[13:16], s[6:7] offset:32 glc
	s_waitcnt vmcnt(0)
	v_cmp_ne_u64_e32 vcc, v[8:9], v[15:16]
	s_and_saveexec_b64 s[10:11], vcc
	s_cbranch_execz .LBB4_645
; %bb.643:
	s_mov_b64 s[12:13], 0
.LBB4_644:                              ; =>This Inner Loop Header: Depth=1
	s_sleep 1
	global_store_dwordx2 v[3:4], v[8:9], off
	v_mov_b32_e32 v6, s2
	v_mov_b32_e32 v7, s3
	s_waitcnt vmcnt(0)
	global_atomic_cmpswap_x2 v[6:7], v12, v[6:9], s[6:7] offset:32 glc
	s_waitcnt vmcnt(0)
	v_cmp_eq_u64_e32 vcc, v[6:7], v[8:9]
	v_mov_b32_e32 v9, v7
	s_or_b64 s[12:13], vcc, s[12:13]
	v_mov_b32_e32 v8, v6
	s_andn2_b64 exec, exec, s[12:13]
	s_cbranch_execnz .LBB4_644
.LBB4_645:
	s_or_b64 exec, exec, s[10:11]
	v_mov_b32_e32 v7, 0
	global_load_dwordx2 v[3:4], v7, s[6:7] offset:16
	s_mov_b64 s[10:11], exec
	v_mbcnt_lo_u32_b32 v6, s10, 0
	v_mbcnt_hi_u32_b32 v6, s11, v6
	v_cmp_eq_u32_e32 vcc, 0, v6
	s_and_saveexec_b64 s[12:13], vcc
	s_cbranch_execz .LBB4_647
; %bb.646:
	s_bcnt1_i32_b64 s10, s[10:11]
	v_mov_b32_e32 v6, s10
	s_waitcnt vmcnt(0)
	global_atomic_add_x2 v[3:4], v[6:7], off offset:8
.LBB4_647:
	s_or_b64 exec, exec, s[12:13]
	s_waitcnt vmcnt(0)
	global_load_dwordx2 v[6:7], v[3:4], off offset:16
	s_waitcnt vmcnt(0)
	v_cmp_eq_u64_e32 vcc, 0, v[6:7]
	s_cbranch_vccnz .LBB4_649
; %bb.648:
	global_load_dword v3, v[3:4], off offset:24
	v_mov_b32_e32 v4, 0
	s_waitcnt vmcnt(0)
	v_readfirstlane_b32 s10, v3
	s_and_b32 m0, s10, 0xffffff
	global_store_dwordx2 v[6:7], v[3:4], off
	s_sendmsg sendmsg(MSG_INTERRUPT)
.LBB4_649:
	s_or_b64 exec, exec, s[8:9]
	s_branch .LBB4_653
.LBB4_650:                              ;   in Loop: Header=BB4_653 Depth=1
	s_or_b64 exec, exec, s[8:9]
	v_readfirstlane_b32 s8, v3
	s_cmp_eq_u32 s8, 0
	s_cbranch_scc1 .LBB4_652
; %bb.651:                              ;   in Loop: Header=BB4_653 Depth=1
	s_sleep 1
	s_cbranch_execnz .LBB4_653
	s_branch .LBB4_655
.LBB4_652:
	s_branch .LBB4_655
.LBB4_653:                              ; =>This Inner Loop Header: Depth=1
	v_mov_b32_e32 v3, 1
	s_and_saveexec_b64 s[8:9], s[0:1]
	s_cbranch_execz .LBB4_650
; %bb.654:                              ;   in Loop: Header=BB4_653 Depth=1
	global_load_dword v3, v[0:1], off offset:20 glc
	s_waitcnt vmcnt(0)
	buffer_wbinvl1_vol
	v_and_b32_e32 v3, 1, v3
	s_branch .LBB4_650
.LBB4_655:
	s_and_saveexec_b64 s[8:9], s[0:1]
	s_cbranch_execz .LBB4_658
; %bb.656:
	v_mov_b32_e32 v3, 0
	global_load_dwordx2 v[0:1], v3, s[6:7] offset:40
	global_load_dwordx2 v[10:11], v3, s[6:7] offset:24 glc
	global_load_dwordx2 v[6:7], v3, s[6:7]
	s_waitcnt vmcnt(2)
	v_readfirstlane_b32 s10, v0
	v_readfirstlane_b32 s11, v1
	s_add_u32 s12, s10, 1
	s_addc_u32 s13, s11, 0
	s_add_u32 s0, s12, s2
	s_addc_u32 s1, s13, s3
	s_cmp_eq_u64 s[0:1], 0
	s_cselect_b32 s1, s13, s1
	s_cselect_b32 s0, s12, s0
	s_and_b64 s[2:3], s[0:1], s[10:11]
	s_mul_i32 s3, s3, 24
	s_mul_hi_u32 s10, s2, 24
	s_mul_i32 s2, s2, 24
	s_add_i32 s3, s10, s3
	v_mov_b32_e32 v1, s3
	s_waitcnt vmcnt(0)
	v_add_co_u32_e32 v0, vcc, s2, v6
	v_addc_co_u32_e32 v1, vcc, v7, v1, vcc
	v_mov_b32_e32 v8, s0
	global_store_dwordx2 v[0:1], v[10:11], off
	v_mov_b32_e32 v9, s1
	s_waitcnt vmcnt(0)
	global_atomic_cmpswap_x2 v[8:9], v3, v[8:11], s[6:7] offset:24 glc
	s_mov_b64 s[2:3], 0
	s_waitcnt vmcnt(0)
	v_cmp_ne_u64_e32 vcc, v[8:9], v[10:11]
	s_and_b64 exec, exec, vcc
	s_cbranch_execz .LBB4_658
.LBB4_657:                              ; =>This Inner Loop Header: Depth=1
	s_sleep 1
	global_store_dwordx2 v[0:1], v[8:9], off
	v_mov_b32_e32 v6, s0
	v_mov_b32_e32 v7, s1
	s_waitcnt vmcnt(0)
	global_atomic_cmpswap_x2 v[6:7], v3, v[6:9], s[6:7] offset:24 glc
	s_waitcnt vmcnt(0)
	v_cmp_eq_u64_e32 vcc, v[6:7], v[8:9]
	v_mov_b32_e32 v9, v7
	s_or_b64 s[2:3], vcc, s[2:3]
	v_mov_b32_e32 v8, v6
	s_andn2_b64 exec, exec, s[2:3]
	s_cbranch_execnz .LBB4_657
.LBB4_658:
	s_or_b64 exec, exec, s[8:9]
	s_load_dwordx2 s[0:1], s[4:5], 0x0
	v_lshlrev_b32_e32 v0, 2, v5
	s_waitcnt lgkmcnt(0)
	global_store_dword v0, v2, s[0:1]
	s_endpgm
	.section	.rodata,"a",@progbits
	.p2align	6, 0x0
	.amdhsa_kernel _Z32kernel_cg_group_partition_staticILj8EEvPibS0_
		.amdhsa_group_segment_fixed_size 0
		.amdhsa_private_segment_fixed_size 0
		.amdhsa_kernarg_size 280
		.amdhsa_user_sgpr_count 6
		.amdhsa_user_sgpr_private_segment_buffer 1
		.amdhsa_user_sgpr_dispatch_ptr 0
		.amdhsa_user_sgpr_queue_ptr 0
		.amdhsa_user_sgpr_kernarg_segment_ptr 1
		.amdhsa_user_sgpr_dispatch_id 0
		.amdhsa_user_sgpr_flat_scratch_init 0
		.amdhsa_user_sgpr_private_segment_size 0
		.amdhsa_uses_dynamic_stack 0
		.amdhsa_system_sgpr_private_segment_wavefront_offset 0
		.amdhsa_system_sgpr_workgroup_id_x 1
		.amdhsa_system_sgpr_workgroup_id_y 0
		.amdhsa_system_sgpr_workgroup_id_z 0
		.amdhsa_system_sgpr_workgroup_info 0
		.amdhsa_system_vgpr_workitem_id 2
		.amdhsa_next_free_vgpr 36
		.amdhsa_next_free_sgpr 30
		.amdhsa_reserve_vcc 1
		.amdhsa_reserve_flat_scratch 0
		.amdhsa_float_round_mode_32 0
		.amdhsa_float_round_mode_16_64 0
		.amdhsa_float_denorm_mode_32 3
		.amdhsa_float_denorm_mode_16_64 3
		.amdhsa_dx10_clamp 1
		.amdhsa_ieee_mode 1
		.amdhsa_fp16_overflow 0
		.amdhsa_exception_fp_ieee_invalid_op 0
		.amdhsa_exception_fp_denorm_src 0
		.amdhsa_exception_fp_ieee_div_zero 0
		.amdhsa_exception_fp_ieee_overflow 0
		.amdhsa_exception_fp_ieee_underflow 0
		.amdhsa_exception_fp_ieee_inexact 0
		.amdhsa_exception_int_div_zero 0
	.end_amdhsa_kernel
	.section	.text._Z32kernel_cg_group_partition_staticILj8EEvPibS0_,"axG",@progbits,_Z32kernel_cg_group_partition_staticILj8EEvPibS0_,comdat
.Lfunc_end4:
	.size	_Z32kernel_cg_group_partition_staticILj8EEvPibS0_, .Lfunc_end4-_Z32kernel_cg_group_partition_staticILj8EEvPibS0_
                                        ; -- End function
	.set _Z32kernel_cg_group_partition_staticILj8EEvPibS0_.num_vgpr, 36
	.set _Z32kernel_cg_group_partition_staticILj8EEvPibS0_.num_agpr, 0
	.set _Z32kernel_cg_group_partition_staticILj8EEvPibS0_.numbered_sgpr, 30
	.set _Z32kernel_cg_group_partition_staticILj8EEvPibS0_.num_named_barrier, 0
	.set _Z32kernel_cg_group_partition_staticILj8EEvPibS0_.private_seg_size, 0
	.set _Z32kernel_cg_group_partition_staticILj8EEvPibS0_.uses_vcc, 1
	.set _Z32kernel_cg_group_partition_staticILj8EEvPibS0_.uses_flat_scratch, 0
	.set _Z32kernel_cg_group_partition_staticILj8EEvPibS0_.has_dyn_sized_stack, 0
	.set _Z32kernel_cg_group_partition_staticILj8EEvPibS0_.has_recursion, 0
	.set _Z32kernel_cg_group_partition_staticILj8EEvPibS0_.has_indirect_call, 0
	.section	.AMDGPU.csdata,"",@progbits
; Kernel info:
; codeLenInByte = 24944
; TotalNumSgprs: 34
; NumVgprs: 36
; ScratchSize: 0
; MemoryBound: 0
; FloatMode: 240
; IeeeMode: 1
; LDSByteSize: 0 bytes/workgroup (compile time only)
; SGPRBlocks: 4
; VGPRBlocks: 8
; NumSGPRsForWavesPerEU: 34
; NumVGPRsForWavesPerEU: 36
; Occupancy: 7
; WaveLimiterHint : 1
; COMPUTE_PGM_RSRC2:SCRATCH_EN: 0
; COMPUTE_PGM_RSRC2:USER_SGPR: 6
; COMPUTE_PGM_RSRC2:TRAP_HANDLER: 0
; COMPUTE_PGM_RSRC2:TGID_X_EN: 1
; COMPUTE_PGM_RSRC2:TGID_Y_EN: 0
; COMPUTE_PGM_RSRC2:TGID_Z_EN: 0
; COMPUTE_PGM_RSRC2:TIDIG_COMP_CNT: 2
	.section	.text._Z32kernel_cg_group_partition_staticILj16EEvPibS0_,"axG",@progbits,_Z32kernel_cg_group_partition_staticILj16EEvPibS0_,comdat
	.protected	_Z32kernel_cg_group_partition_staticILj16EEvPibS0_ ; -- Begin function _Z32kernel_cg_group_partition_staticILj16EEvPibS0_
	.globl	_Z32kernel_cg_group_partition_staticILj16EEvPibS0_
	.p2align	8
	.type	_Z32kernel_cg_group_partition_staticILj16EEvPibS0_,@function
_Z32kernel_cg_group_partition_staticILj16EEvPibS0_: ; @_Z32kernel_cg_group_partition_staticILj16EEvPibS0_
; %bb.0:
	s_mov_b64 s[2:3], src_shared_base
	s_load_dword s2, s[4:5], 0x8
	s_load_dwordx2 s[0:1], s[4:5], 0x24
	s_load_dwordx2 s[8:9], s[4:5], 0x10
	s_waitcnt lgkmcnt(0)
	s_and_b32 s2, 1, s2
	s_add_u32 s6, s4, 24
	s_addc_u32 s7, s5, 0
	s_and_b32 s10, s1, 0xffff
	s_lshr_b32 s11, s0, 16
	s_and_b32 s0, s0, 0xffff
	s_cmp_lg_u32 0, -1
	v_mad_u32_u24 v1, v2, s11, v1
	s_cselect_b32 s12, 0, 0
	s_cselect_b32 s13, s3, 0
	s_cmp_eq_u32 s2, 1
	v_mad_u64_u32 v[26:27], s[2:3], v1, s0, v[0:1]
	s_mul_i32 s26, s11, s0
	s_mul_i32 s26, s26, s10
	s_mov_b32 s1, 0
	s_cselect_b32 s27, s9, s13
	s_cselect_b32 s28, s8, s12
	v_mov_b32_e32 v31, v26
	s_cmp_lt_u32 s26, 2
	v_mov_b32_e32 v34, v26
	s_cbranch_scc1 .LBB5_6
; %bb.1:
	v_ashrrev_i32_e32 v27, 31, v26
	v_lshlrev_b64 v[0:1], 2, v[26:27]
	v_mov_b32_e32 v2, s27
	v_add_co_u32_e32 v0, vcc, s28, v0
	v_addc_co_u32_e32 v1, vcc, v2, v1, vcc
	s_mov_b32 s8, s26
	v_mov_b32_e32 v34, v31
.LBB5_2:                                ; =>This Inner Loop Header: Depth=1
	s_lshr_b32 s0, s8, 1
	v_cmp_gt_i32_e32 vcc, s0, v26
	flat_store_dword v[0:1], v34
	s_waitcnt vmcnt(0) lgkmcnt(0)
	s_barrier
	s_and_saveexec_b64 s[2:3], vcc
	s_cbranch_execz .LBB5_4
; %bb.3:                                ;   in Loop: Header=BB5_2 Depth=1
	s_lshl_b64 s[10:11], s[0:1], 2
	v_mov_b32_e32 v3, s11
	v_add_co_u32_e32 v2, vcc, s10, v0
	v_addc_co_u32_e32 v3, vcc, v1, v3, vcc
	flat_load_dword v2, v[2:3]
	s_waitcnt vmcnt(0) lgkmcnt(0)
	v_add_u32_e32 v34, v2, v34
.LBB5_4:                                ;   in Loop: Header=BB5_2 Depth=1
	s_or_b64 exec, exec, s[2:3]
	s_cmp_gt_u32 s8, 3
	s_barrier
	s_cbranch_scc0 .LBB5_6
; %bb.5:                                ;   in Loop: Header=BB5_2 Depth=1
	s_mov_b32 s8, s0
	s_branch .LBB5_2
.LBB5_6:
	v_cmp_eq_u32_e64 s[0:1], 0, v26
	s_and_saveexec_b64 s[8:9], s[0:1]
	s_cbranch_execz .LBB5_408
; %bb.7:
	s_load_dwordx2 s[10:11], s[6:7], 0x50
	v_mbcnt_lo_u32_b32 v0, -1, 0
	v_mbcnt_hi_u32_b32 v33, -1, v0
	v_readfirstlane_b32 s2, v33
	v_mov_b32_e32 v5, 0
	v_mov_b32_e32 v6, 0
	v_cmp_eq_u32_e64 s[2:3], s2, v33
	s_and_saveexec_b64 s[12:13], s[2:3]
	s_cbranch_execz .LBB5_13
; %bb.8:
	v_mov_b32_e32 v0, 0
	s_waitcnt lgkmcnt(0)
	global_load_dwordx2 v[3:4], v0, s[10:11] offset:24 glc
	s_waitcnt vmcnt(0)
	buffer_wbinvl1_vol
	global_load_dwordx2 v[1:2], v0, s[10:11] offset:40
	global_load_dwordx2 v[5:6], v0, s[10:11]
	s_waitcnt vmcnt(1)
	v_and_b32_e32 v1, v1, v3
	v_and_b32_e32 v2, v2, v4
	v_mul_lo_u32 v2, v2, 24
	v_mul_hi_u32 v7, v1, 24
	v_mul_lo_u32 v1, v1, 24
	v_add_u32_e32 v2, v7, v2
	s_waitcnt vmcnt(0)
	v_add_co_u32_e32 v1, vcc, v5, v1
	v_addc_co_u32_e32 v2, vcc, v6, v2, vcc
	global_load_dwordx2 v[1:2], v[1:2], off glc
	s_waitcnt vmcnt(0)
	global_atomic_cmpswap_x2 v[5:6], v0, v[1:4], s[10:11] offset:24 glc
	s_waitcnt vmcnt(0)
	buffer_wbinvl1_vol
	v_cmp_ne_u64_e32 vcc, v[5:6], v[3:4]
	s_and_saveexec_b64 s[14:15], vcc
	s_cbranch_execz .LBB5_12
; %bb.9:
	s_mov_b64 s[16:17], 0
.LBB5_10:                               ; =>This Inner Loop Header: Depth=1
	s_sleep 1
	global_load_dwordx2 v[1:2], v0, s[10:11] offset:40
	global_load_dwordx2 v[7:8], v0, s[10:11]
	v_mov_b32_e32 v3, v5
	v_mov_b32_e32 v4, v6
	s_waitcnt vmcnt(1)
	v_and_b32_e32 v1, v1, v3
	s_waitcnt vmcnt(0)
	v_mad_u64_u32 v[5:6], s[18:19], v1, 24, v[7:8]
	v_and_b32_e32 v2, v2, v4
	v_mov_b32_e32 v1, v6
	v_mad_u64_u32 v[1:2], s[18:19], v2, 24, v[1:2]
	v_mov_b32_e32 v6, v1
	global_load_dwordx2 v[1:2], v[5:6], off glc
	s_waitcnt vmcnt(0)
	global_atomic_cmpswap_x2 v[5:6], v0, v[1:4], s[10:11] offset:24 glc
	s_waitcnt vmcnt(0)
	buffer_wbinvl1_vol
	v_cmp_eq_u64_e32 vcc, v[5:6], v[3:4]
	s_or_b64 s[16:17], vcc, s[16:17]
	s_andn2_b64 exec, exec, s[16:17]
	s_cbranch_execnz .LBB5_10
; %bb.11:
	s_or_b64 exec, exec, s[16:17]
.LBB5_12:
	s_or_b64 exec, exec, s[14:15]
.LBB5_13:
	s_or_b64 exec, exec, s[12:13]
	v_mov_b32_e32 v4, 0
	s_waitcnt lgkmcnt(0)
	global_load_dwordx2 v[7:8], v4, s[10:11] offset:40
	global_load_dwordx4 v[0:3], v4, s[10:11]
	v_readfirstlane_b32 s13, v6
	v_readfirstlane_b32 s12, v5
	s_mov_b64 s[14:15], exec
	s_waitcnt vmcnt(1)
	v_readfirstlane_b32 s16, v7
	v_readfirstlane_b32 s17, v8
	s_and_b64 s[16:17], s[16:17], s[12:13]
	s_mul_i32 s18, s17, 24
	s_mul_hi_u32 s19, s16, 24
	s_mul_i32 s20, s16, 24
	s_add_i32 s18, s19, s18
	v_mov_b32_e32 v5, s18
	s_waitcnt vmcnt(0)
	v_add_co_u32_e32 v7, vcc, s20, v0
	v_addc_co_u32_e32 v8, vcc, v1, v5, vcc
	s_and_saveexec_b64 s[18:19], s[2:3]
	s_cbranch_execz .LBB5_15
; %bb.14:
	v_mov_b32_e32 v9, s14
	v_mov_b32_e32 v10, s15
	;; [unrolled: 1-line block ×4, first 2 shown]
	global_store_dwordx4 v[7:8], v[9:12], off offset:8
.LBB5_15:
	s_or_b64 exec, exec, s[18:19]
	s_lshl_b64 s[14:15], s[16:17], 12
	v_mov_b32_e32 v5, s15
	v_add_co_u32_e32 v2, vcc, s14, v2
	v_addc_co_u32_e32 v11, vcc, v3, v5, vcc
	v_lshlrev_b32_e32 v32, 6, v33
	s_mov_b32 s16, 0
	v_mov_b32_e32 v3, 33
	v_mov_b32_e32 v5, v4
	;; [unrolled: 1-line block ×3, first 2 shown]
	v_readfirstlane_b32 s14, v2
	v_readfirstlane_b32 s15, v11
	v_add_co_u32_e32 v9, vcc, v2, v32
	s_mov_b32 s17, s16
	s_mov_b32 s18, s16
	;; [unrolled: 1-line block ×3, first 2 shown]
	s_nop 0
	global_store_dwordx4 v32, v[3:6], s[14:15]
	v_mov_b32_e32 v2, s16
	v_addc_co_u32_e32 v10, vcc, 0, v11, vcc
	v_mov_b32_e32 v3, s17
	v_mov_b32_e32 v4, s18
	;; [unrolled: 1-line block ×3, first 2 shown]
	global_store_dwordx4 v32, v[2:5], s[14:15] offset:16
	global_store_dwordx4 v32, v[2:5], s[14:15] offset:32
	;; [unrolled: 1-line block ×3, first 2 shown]
	s_and_saveexec_b64 s[14:15], s[2:3]
	s_cbranch_execz .LBB5_23
; %bb.16:
	v_mov_b32_e32 v6, 0
	global_load_dwordx2 v[13:14], v6, s[10:11] offset:32 glc
	global_load_dwordx2 v[2:3], v6, s[10:11] offset:40
	v_mov_b32_e32 v11, s12
	v_mov_b32_e32 v12, s13
	s_waitcnt vmcnt(0)
	v_and_b32_e32 v2, s12, v2
	v_and_b32_e32 v3, s13, v3
	v_mul_lo_u32 v3, v3, 24
	v_mul_hi_u32 v4, v2, 24
	v_mul_lo_u32 v2, v2, 24
	v_add_u32_e32 v3, v4, v3
	v_add_co_u32_e32 v4, vcc, v0, v2
	v_addc_co_u32_e32 v5, vcc, v1, v3, vcc
	global_store_dwordx2 v[4:5], v[13:14], off
	s_waitcnt vmcnt(0)
	global_atomic_cmpswap_x2 v[2:3], v6, v[11:14], s[10:11] offset:32 glc
	s_waitcnt vmcnt(0)
	v_cmp_ne_u64_e32 vcc, v[2:3], v[13:14]
	s_and_saveexec_b64 s[16:17], vcc
	s_cbranch_execz .LBB5_19
; %bb.17:
	s_mov_b64 s[18:19], 0
.LBB5_18:                               ; =>This Inner Loop Header: Depth=1
	s_sleep 1
	global_store_dwordx2 v[4:5], v[2:3], off
	v_mov_b32_e32 v0, s12
	v_mov_b32_e32 v1, s13
	s_waitcnt vmcnt(0)
	global_atomic_cmpswap_x2 v[0:1], v6, v[0:3], s[10:11] offset:32 glc
	s_waitcnt vmcnt(0)
	v_cmp_eq_u64_e32 vcc, v[0:1], v[2:3]
	v_mov_b32_e32 v3, v1
	s_or_b64 s[18:19], vcc, s[18:19]
	v_mov_b32_e32 v2, v0
	s_andn2_b64 exec, exec, s[18:19]
	s_cbranch_execnz .LBB5_18
.LBB5_19:
	s_or_b64 exec, exec, s[16:17]
	v_mov_b32_e32 v3, 0
	global_load_dwordx2 v[0:1], v3, s[10:11] offset:16
	s_mov_b64 s[16:17], exec
	v_mbcnt_lo_u32_b32 v2, s16, 0
	v_mbcnt_hi_u32_b32 v2, s17, v2
	v_cmp_eq_u32_e32 vcc, 0, v2
	s_and_saveexec_b64 s[18:19], vcc
	s_cbranch_execz .LBB5_21
; %bb.20:
	s_bcnt1_i32_b64 s16, s[16:17]
	v_mov_b32_e32 v2, s16
	s_waitcnt vmcnt(0)
	global_atomic_add_x2 v[0:1], v[2:3], off offset:8
.LBB5_21:
	s_or_b64 exec, exec, s[18:19]
	s_waitcnt vmcnt(0)
	global_load_dwordx2 v[2:3], v[0:1], off offset:16
	s_waitcnt vmcnt(0)
	v_cmp_eq_u64_e32 vcc, 0, v[2:3]
	s_cbranch_vccnz .LBB5_23
; %bb.22:
	global_load_dword v0, v[0:1], off offset:24
	v_mov_b32_e32 v1, 0
	s_waitcnt vmcnt(0)
	v_readfirstlane_b32 s16, v0
	s_and_b32 m0, s16, 0xffffff
	global_store_dwordx2 v[2:3], v[0:1], off
	s_sendmsg sendmsg(MSG_INTERRUPT)
.LBB5_23:
	s_or_b64 exec, exec, s[14:15]
	s_branch .LBB5_27
.LBB5_24:                               ;   in Loop: Header=BB5_27 Depth=1
	s_or_b64 exec, exec, s[14:15]
	v_readfirstlane_b32 s14, v0
	s_cmp_eq_u32 s14, 0
	s_cbranch_scc1 .LBB5_26
; %bb.25:                               ;   in Loop: Header=BB5_27 Depth=1
	s_sleep 1
	s_cbranch_execnz .LBB5_27
	s_branch .LBB5_29
.LBB5_26:
	s_branch .LBB5_29
.LBB5_27:                               ; =>This Inner Loop Header: Depth=1
	v_mov_b32_e32 v0, 1
	s_and_saveexec_b64 s[14:15], s[2:3]
	s_cbranch_execz .LBB5_24
; %bb.28:                               ;   in Loop: Header=BB5_27 Depth=1
	global_load_dword v0, v[7:8], off offset:20 glc
	s_waitcnt vmcnt(0)
	buffer_wbinvl1_vol
	v_and_b32_e32 v0, 1, v0
	s_branch .LBB5_24
.LBB5_29:
	global_load_dwordx2 v[0:1], v[9:10], off
	s_and_saveexec_b64 s[14:15], s[2:3]
	s_cbranch_execz .LBB5_32
; %bb.30:
	v_mov_b32_e32 v8, 0
	global_load_dwordx2 v[2:3], v8, s[10:11] offset:40
	global_load_dwordx2 v[11:12], v8, s[10:11] offset:24 glc
	global_load_dwordx2 v[4:5], v8, s[10:11]
	s_waitcnt vmcnt(2)
	v_readfirstlane_b32 s16, v2
	v_readfirstlane_b32 s17, v3
	s_add_u32 s18, s16, 1
	s_addc_u32 s19, s17, 0
	s_add_u32 s2, s18, s12
	s_addc_u32 s3, s19, s13
	s_cmp_eq_u64 s[2:3], 0
	s_cselect_b32 s3, s19, s3
	s_cselect_b32 s2, s18, s2
	s_and_b64 s[12:13], s[2:3], s[16:17]
	s_mul_i32 s13, s13, 24
	s_mul_hi_u32 s16, s12, 24
	s_mul_i32 s12, s12, 24
	s_add_i32 s13, s16, s13
	v_mov_b32_e32 v2, s13
	s_waitcnt vmcnt(0)
	v_add_co_u32_e32 v6, vcc, s12, v4
	v_addc_co_u32_e32 v7, vcc, v5, v2, vcc
	v_mov_b32_e32 v9, s2
	global_store_dwordx2 v[6:7], v[11:12], off
	v_mov_b32_e32 v10, s3
	s_waitcnt vmcnt(0)
	global_atomic_cmpswap_x2 v[4:5], v8, v[9:12], s[10:11] offset:24 glc
	s_mov_b64 s[12:13], 0
	s_waitcnt vmcnt(0)
	v_cmp_ne_u64_e32 vcc, v[4:5], v[11:12]
	s_and_b64 exec, exec, vcc
	s_cbranch_execz .LBB5_32
.LBB5_31:                               ; =>This Inner Loop Header: Depth=1
	s_sleep 1
	global_store_dwordx2 v[6:7], v[4:5], off
	v_mov_b32_e32 v2, s2
	v_mov_b32_e32 v3, s3
	s_waitcnt vmcnt(0)
	global_atomic_cmpswap_x2 v[2:3], v8, v[2:5], s[10:11] offset:24 glc
	s_waitcnt vmcnt(0)
	v_cmp_eq_u64_e32 vcc, v[2:3], v[4:5]
	v_mov_b32_e32 v5, v3
	s_or_b64 s[12:13], vcc, s[12:13]
	v_mov_b32_e32 v4, v2
	s_andn2_b64 exec, exec, s[12:13]
	s_cbranch_execnz .LBB5_31
.LBB5_32:
	s_or_b64 exec, exec, s[14:15]
	s_getpc_b64 s[12:13]
	s_add_u32 s12, s12, .str.8@rel32@lo+4
	s_addc_u32 s13, s13, .str.8@rel32@hi+12
	s_cmp_lg_u64 s[12:13], 0
	s_cbranch_scc0 .LBB5_118
; %bb.33:
	s_waitcnt vmcnt(0)
	v_and_b32_e32 v35, 2, v0
	v_mov_b32_e32 v28, 0
	v_and_b32_e32 v2, -3, v0
	v_mov_b32_e32 v3, v1
	s_mov_b64 s[14:15], 0x4d
	v_mov_b32_e32 v8, 2
	v_mov_b32_e32 v9, 1
	s_branch .LBB5_35
.LBB5_34:                               ;   in Loop: Header=BB5_35 Depth=1
	s_or_b64 exec, exec, s[20:21]
	s_sub_u32 s14, s14, s16
	s_subb_u32 s15, s15, s17
	s_add_u32 s12, s12, s16
	s_addc_u32 s13, s13, s17
	s_cmp_lg_u64 s[14:15], 0
	s_cbranch_scc0 .LBB5_117
.LBB5_35:                               ; =>This Loop Header: Depth=1
                                        ;     Child Loop BB5_38 Depth 2
                                        ;     Child Loop BB5_46 Depth 2
	;; [unrolled: 1-line block ×11, first 2 shown]
	v_cmp_lt_u64_e64 s[2:3], s[14:15], 56
	v_cmp_gt_u64_e64 s[18:19], s[14:15], 7
	s_and_b64 s[2:3], s[2:3], exec
	s_cselect_b32 s17, s15, 0
	s_cselect_b32 s16, s14, 56
	s_add_u32 s2, s12, 8
	s_addc_u32 s3, s13, 0
	s_and_b64 vcc, exec, s[18:19]
	s_cbranch_vccnz .LBB5_39
; %bb.36:                               ;   in Loop: Header=BB5_35 Depth=1
	s_cmp_eq_u64 s[14:15], 0
	s_cbranch_scc1 .LBB5_40
; %bb.37:                               ;   in Loop: Header=BB5_35 Depth=1
	v_mov_b32_e32 v4, 0
	s_lshl_b64 s[2:3], s[16:17], 3
	s_mov_b64 s[18:19], 0
	v_mov_b32_e32 v5, 0
	s_mov_b64 s[20:21], s[12:13]
.LBB5_38:                               ;   Parent Loop BB5_35 Depth=1
                                        ; =>  This Inner Loop Header: Depth=2
	global_load_ubyte v6, v28, s[20:21]
	s_waitcnt vmcnt(0)
	v_and_b32_e32 v27, 0xffff, v6
	v_lshlrev_b64 v[6:7], s18, v[27:28]
	s_add_u32 s18, s18, 8
	s_addc_u32 s19, s19, 0
	s_add_u32 s20, s20, 1
	s_addc_u32 s21, s21, 0
	v_or_b32_e32 v4, v6, v4
	s_cmp_lg_u32 s2, s18
	v_or_b32_e32 v5, v7, v5
	s_cbranch_scc1 .LBB5_38
	s_branch .LBB5_41
.LBB5_39:                               ;   in Loop: Header=BB5_35 Depth=1
	s_mov_b32 s22, 0
	s_branch .LBB5_42
.LBB5_40:                               ;   in Loop: Header=BB5_35 Depth=1
	v_mov_b32_e32 v4, 0
	v_mov_b32_e32 v5, 0
.LBB5_41:                               ;   in Loop: Header=BB5_35 Depth=1
	s_mov_b64 s[2:3], s[12:13]
	s_mov_b32 s22, 0
	s_cbranch_execnz .LBB5_43
.LBB5_42:                               ;   in Loop: Header=BB5_35 Depth=1
	global_load_dwordx2 v[4:5], v28, s[12:13]
	s_add_i32 s22, s16, -8
.LBB5_43:                               ;   in Loop: Header=BB5_35 Depth=1
	s_add_u32 s18, s2, 8
	s_addc_u32 s19, s3, 0
	s_cmp_gt_u32 s22, 7
	s_cbranch_scc1 .LBB5_47
; %bb.44:                               ;   in Loop: Header=BB5_35 Depth=1
	s_cmp_eq_u32 s22, 0
	s_cbranch_scc1 .LBB5_48
; %bb.45:                               ;   in Loop: Header=BB5_35 Depth=1
	v_mov_b32_e32 v10, 0
	s_mov_b64 s[18:19], 0
	v_mov_b32_e32 v11, 0
	s_mov_b64 s[20:21], 0
.LBB5_46:                               ;   Parent Loop BB5_35 Depth=1
                                        ; =>  This Inner Loop Header: Depth=2
	s_add_u32 s24, s2, s20
	s_addc_u32 s25, s3, s21
	global_load_ubyte v6, v28, s[24:25]
	s_add_u32 s20, s20, 1
	s_addc_u32 s21, s21, 0
	s_waitcnt vmcnt(0)
	v_and_b32_e32 v27, 0xffff, v6
	v_lshlrev_b64 v[6:7], s18, v[27:28]
	s_add_u32 s18, s18, 8
	s_addc_u32 s19, s19, 0
	v_or_b32_e32 v10, v6, v10
	s_cmp_lg_u32 s22, s20
	v_or_b32_e32 v11, v7, v11
	s_cbranch_scc1 .LBB5_46
	s_branch .LBB5_49
.LBB5_47:                               ;   in Loop: Header=BB5_35 Depth=1
                                        ; implicit-def: $vgpr10_vgpr11
	s_mov_b32 s23, 0
	s_branch .LBB5_50
.LBB5_48:                               ;   in Loop: Header=BB5_35 Depth=1
	v_mov_b32_e32 v10, 0
	v_mov_b32_e32 v11, 0
.LBB5_49:                               ;   in Loop: Header=BB5_35 Depth=1
	s_mov_b64 s[18:19], s[2:3]
	s_mov_b32 s23, 0
	s_cbranch_execnz .LBB5_51
.LBB5_50:                               ;   in Loop: Header=BB5_35 Depth=1
	global_load_dwordx2 v[10:11], v28, s[2:3]
	s_add_i32 s23, s22, -8
.LBB5_51:                               ;   in Loop: Header=BB5_35 Depth=1
	s_add_u32 s2, s18, 8
	s_addc_u32 s3, s19, 0
	s_cmp_gt_u32 s23, 7
	s_cbranch_scc1 .LBB5_55
; %bb.52:                               ;   in Loop: Header=BB5_35 Depth=1
	s_cmp_eq_u32 s23, 0
	s_cbranch_scc1 .LBB5_56
; %bb.53:                               ;   in Loop: Header=BB5_35 Depth=1
	v_mov_b32_e32 v12, 0
	s_mov_b64 s[2:3], 0
	v_mov_b32_e32 v13, 0
	s_mov_b64 s[20:21], 0
.LBB5_54:                               ;   Parent Loop BB5_35 Depth=1
                                        ; =>  This Inner Loop Header: Depth=2
	s_add_u32 s24, s18, s20
	s_addc_u32 s25, s19, s21
	global_load_ubyte v6, v28, s[24:25]
	s_add_u32 s20, s20, 1
	s_addc_u32 s21, s21, 0
	s_waitcnt vmcnt(0)
	v_and_b32_e32 v27, 0xffff, v6
	v_lshlrev_b64 v[6:7], s2, v[27:28]
	s_add_u32 s2, s2, 8
	s_addc_u32 s3, s3, 0
	v_or_b32_e32 v12, v6, v12
	s_cmp_lg_u32 s23, s20
	v_or_b32_e32 v13, v7, v13
	s_cbranch_scc1 .LBB5_54
	s_branch .LBB5_57
.LBB5_55:                               ;   in Loop: Header=BB5_35 Depth=1
	s_mov_b32 s22, 0
	s_branch .LBB5_58
.LBB5_56:                               ;   in Loop: Header=BB5_35 Depth=1
	v_mov_b32_e32 v12, 0
	v_mov_b32_e32 v13, 0
.LBB5_57:                               ;   in Loop: Header=BB5_35 Depth=1
	s_mov_b64 s[2:3], s[18:19]
	s_mov_b32 s22, 0
	s_cbranch_execnz .LBB5_59
.LBB5_58:                               ;   in Loop: Header=BB5_35 Depth=1
	global_load_dwordx2 v[12:13], v28, s[18:19]
	s_add_i32 s22, s23, -8
.LBB5_59:                               ;   in Loop: Header=BB5_35 Depth=1
	s_add_u32 s18, s2, 8
	s_addc_u32 s19, s3, 0
	s_cmp_gt_u32 s22, 7
	s_cbranch_scc1 .LBB5_63
; %bb.60:                               ;   in Loop: Header=BB5_35 Depth=1
	s_cmp_eq_u32 s22, 0
	s_cbranch_scc1 .LBB5_64
; %bb.61:                               ;   in Loop: Header=BB5_35 Depth=1
	v_mov_b32_e32 v14, 0
	s_mov_b64 s[18:19], 0
	v_mov_b32_e32 v15, 0
	s_mov_b64 s[20:21], 0
.LBB5_62:                               ;   Parent Loop BB5_35 Depth=1
                                        ; =>  This Inner Loop Header: Depth=2
	s_add_u32 s24, s2, s20
	s_addc_u32 s25, s3, s21
	global_load_ubyte v6, v28, s[24:25]
	s_add_u32 s20, s20, 1
	s_addc_u32 s21, s21, 0
	s_waitcnt vmcnt(0)
	v_and_b32_e32 v27, 0xffff, v6
	v_lshlrev_b64 v[6:7], s18, v[27:28]
	s_add_u32 s18, s18, 8
	s_addc_u32 s19, s19, 0
	v_or_b32_e32 v14, v6, v14
	s_cmp_lg_u32 s22, s20
	v_or_b32_e32 v15, v7, v15
	s_cbranch_scc1 .LBB5_62
	s_branch .LBB5_65
.LBB5_63:                               ;   in Loop: Header=BB5_35 Depth=1
                                        ; implicit-def: $vgpr14_vgpr15
	s_mov_b32 s23, 0
	s_branch .LBB5_66
.LBB5_64:                               ;   in Loop: Header=BB5_35 Depth=1
	v_mov_b32_e32 v14, 0
	v_mov_b32_e32 v15, 0
.LBB5_65:                               ;   in Loop: Header=BB5_35 Depth=1
	s_mov_b64 s[18:19], s[2:3]
	s_mov_b32 s23, 0
	s_cbranch_execnz .LBB5_67
.LBB5_66:                               ;   in Loop: Header=BB5_35 Depth=1
	global_load_dwordx2 v[14:15], v28, s[2:3]
	s_add_i32 s23, s22, -8
.LBB5_67:                               ;   in Loop: Header=BB5_35 Depth=1
	s_add_u32 s2, s18, 8
	s_addc_u32 s3, s19, 0
	s_cmp_gt_u32 s23, 7
	s_cbranch_scc1 .LBB5_71
; %bb.68:                               ;   in Loop: Header=BB5_35 Depth=1
	s_cmp_eq_u32 s23, 0
	s_cbranch_scc1 .LBB5_72
; %bb.69:                               ;   in Loop: Header=BB5_35 Depth=1
	v_mov_b32_e32 v16, 0
	s_mov_b64 s[2:3], 0
	v_mov_b32_e32 v17, 0
	s_mov_b64 s[20:21], 0
.LBB5_70:                               ;   Parent Loop BB5_35 Depth=1
                                        ; =>  This Inner Loop Header: Depth=2
	s_add_u32 s24, s18, s20
	s_addc_u32 s25, s19, s21
	global_load_ubyte v6, v28, s[24:25]
	s_add_u32 s20, s20, 1
	s_addc_u32 s21, s21, 0
	s_waitcnt vmcnt(0)
	v_and_b32_e32 v27, 0xffff, v6
	v_lshlrev_b64 v[6:7], s2, v[27:28]
	s_add_u32 s2, s2, 8
	s_addc_u32 s3, s3, 0
	v_or_b32_e32 v16, v6, v16
	s_cmp_lg_u32 s23, s20
	v_or_b32_e32 v17, v7, v17
	s_cbranch_scc1 .LBB5_70
	s_branch .LBB5_73
.LBB5_71:                               ;   in Loop: Header=BB5_35 Depth=1
	s_mov_b32 s22, 0
	s_branch .LBB5_74
.LBB5_72:                               ;   in Loop: Header=BB5_35 Depth=1
	v_mov_b32_e32 v16, 0
	v_mov_b32_e32 v17, 0
.LBB5_73:                               ;   in Loop: Header=BB5_35 Depth=1
	s_mov_b64 s[2:3], s[18:19]
	s_mov_b32 s22, 0
	s_cbranch_execnz .LBB5_75
.LBB5_74:                               ;   in Loop: Header=BB5_35 Depth=1
	global_load_dwordx2 v[16:17], v28, s[18:19]
	s_add_i32 s22, s23, -8
.LBB5_75:                               ;   in Loop: Header=BB5_35 Depth=1
	s_add_u32 s18, s2, 8
	s_addc_u32 s19, s3, 0
	s_cmp_gt_u32 s22, 7
	s_cbranch_scc1 .LBB5_79
; %bb.76:                               ;   in Loop: Header=BB5_35 Depth=1
	s_cmp_eq_u32 s22, 0
	s_cbranch_scc1 .LBB5_80
; %bb.77:                               ;   in Loop: Header=BB5_35 Depth=1
	v_mov_b32_e32 v18, 0
	s_mov_b64 s[18:19], 0
	v_mov_b32_e32 v19, 0
	s_mov_b64 s[20:21], 0
.LBB5_78:                               ;   Parent Loop BB5_35 Depth=1
                                        ; =>  This Inner Loop Header: Depth=2
	s_add_u32 s24, s2, s20
	s_addc_u32 s25, s3, s21
	global_load_ubyte v6, v28, s[24:25]
	s_add_u32 s20, s20, 1
	s_addc_u32 s21, s21, 0
	s_waitcnt vmcnt(0)
	v_and_b32_e32 v27, 0xffff, v6
	v_lshlrev_b64 v[6:7], s18, v[27:28]
	s_add_u32 s18, s18, 8
	s_addc_u32 s19, s19, 0
	v_or_b32_e32 v18, v6, v18
	s_cmp_lg_u32 s22, s20
	v_or_b32_e32 v19, v7, v19
	s_cbranch_scc1 .LBB5_78
	s_branch .LBB5_81
.LBB5_79:                               ;   in Loop: Header=BB5_35 Depth=1
                                        ; implicit-def: $vgpr18_vgpr19
	s_mov_b32 s23, 0
	s_branch .LBB5_82
.LBB5_80:                               ;   in Loop: Header=BB5_35 Depth=1
	v_mov_b32_e32 v18, 0
	v_mov_b32_e32 v19, 0
.LBB5_81:                               ;   in Loop: Header=BB5_35 Depth=1
	s_mov_b64 s[18:19], s[2:3]
	s_mov_b32 s23, 0
	s_cbranch_execnz .LBB5_83
.LBB5_82:                               ;   in Loop: Header=BB5_35 Depth=1
	global_load_dwordx2 v[18:19], v28, s[2:3]
	s_add_i32 s23, s22, -8
.LBB5_83:                               ;   in Loop: Header=BB5_35 Depth=1
	s_cmp_gt_u32 s23, 7
	s_cbranch_scc1 .LBB5_87
; %bb.84:                               ;   in Loop: Header=BB5_35 Depth=1
	s_cmp_eq_u32 s23, 0
	s_cbranch_scc1 .LBB5_88
; %bb.85:                               ;   in Loop: Header=BB5_35 Depth=1
	v_mov_b32_e32 v20, 0
	s_mov_b64 s[2:3], 0
	v_mov_b32_e32 v21, 0
	s_mov_b64 s[20:21], s[18:19]
.LBB5_86:                               ;   Parent Loop BB5_35 Depth=1
                                        ; =>  This Inner Loop Header: Depth=2
	global_load_ubyte v6, v28, s[20:21]
	s_add_i32 s23, s23, -1
	s_waitcnt vmcnt(0)
	v_and_b32_e32 v27, 0xffff, v6
	v_lshlrev_b64 v[6:7], s2, v[27:28]
	s_add_u32 s2, s2, 8
	s_addc_u32 s3, s3, 0
	s_add_u32 s20, s20, 1
	s_addc_u32 s21, s21, 0
	v_or_b32_e32 v20, v6, v20
	s_cmp_lg_u32 s23, 0
	v_or_b32_e32 v21, v7, v21
	s_cbranch_scc1 .LBB5_86
	s_branch .LBB5_89
.LBB5_87:                               ;   in Loop: Header=BB5_35 Depth=1
	s_branch .LBB5_90
.LBB5_88:                               ;   in Loop: Header=BB5_35 Depth=1
	v_mov_b32_e32 v20, 0
	v_mov_b32_e32 v21, 0
.LBB5_89:                               ;   in Loop: Header=BB5_35 Depth=1
	s_cbranch_execnz .LBB5_91
.LBB5_90:                               ;   in Loop: Header=BB5_35 Depth=1
	global_load_dwordx2 v[20:21], v28, s[18:19]
.LBB5_91:                               ;   in Loop: Header=BB5_35 Depth=1
	v_readfirstlane_b32 s2, v33
	v_mov_b32_e32 v6, 0
	v_mov_b32_e32 v7, 0
	v_cmp_eq_u32_e64 s[2:3], s2, v33
	s_and_saveexec_b64 s[18:19], s[2:3]
	s_cbranch_execz .LBB5_97
; %bb.92:                               ;   in Loop: Header=BB5_35 Depth=1
	global_load_dwordx2 v[24:25], v28, s[10:11] offset:24 glc
	s_waitcnt vmcnt(0)
	buffer_wbinvl1_vol
	global_load_dwordx2 v[6:7], v28, s[10:11] offset:40
	global_load_dwordx2 v[22:23], v28, s[10:11]
	s_waitcnt vmcnt(1)
	v_and_b32_e32 v6, v6, v24
	v_and_b32_e32 v7, v7, v25
	v_mul_lo_u32 v7, v7, 24
	v_mul_hi_u32 v27, v6, 24
	v_mul_lo_u32 v6, v6, 24
	v_add_u32_e32 v7, v27, v7
	s_waitcnt vmcnt(0)
	v_add_co_u32_e32 v6, vcc, v22, v6
	v_addc_co_u32_e32 v7, vcc, v23, v7, vcc
	global_load_dwordx2 v[22:23], v[6:7], off glc
	s_waitcnt vmcnt(0)
	global_atomic_cmpswap_x2 v[6:7], v28, v[22:25], s[10:11] offset:24 glc
	s_waitcnt vmcnt(0)
	buffer_wbinvl1_vol
	v_cmp_ne_u64_e32 vcc, v[6:7], v[24:25]
	s_and_saveexec_b64 s[20:21], vcc
	s_cbranch_execz .LBB5_96
; %bb.93:                               ;   in Loop: Header=BB5_35 Depth=1
	s_mov_b64 s[22:23], 0
.LBB5_94:                               ;   Parent Loop BB5_35 Depth=1
                                        ; =>  This Inner Loop Header: Depth=2
	s_sleep 1
	global_load_dwordx2 v[22:23], v28, s[10:11] offset:40
	global_load_dwordx2 v[29:30], v28, s[10:11]
	v_mov_b32_e32 v25, v7
	v_mov_b32_e32 v24, v6
	s_waitcnt vmcnt(1)
	v_and_b32_e32 v6, v22, v24
	s_waitcnt vmcnt(0)
	v_mad_u64_u32 v[6:7], s[24:25], v6, 24, v[29:30]
	v_and_b32_e32 v22, v23, v25
	v_mad_u64_u32 v[22:23], s[24:25], v22, 24, v[7:8]
	v_mov_b32_e32 v7, v22
	global_load_dwordx2 v[22:23], v[6:7], off glc
	s_waitcnt vmcnt(0)
	global_atomic_cmpswap_x2 v[6:7], v28, v[22:25], s[10:11] offset:24 glc
	s_waitcnt vmcnt(0)
	buffer_wbinvl1_vol
	v_cmp_eq_u64_e32 vcc, v[6:7], v[24:25]
	s_or_b64 s[22:23], vcc, s[22:23]
	s_andn2_b64 exec, exec, s[22:23]
	s_cbranch_execnz .LBB5_94
; %bb.95:                               ;   in Loop: Header=BB5_35 Depth=1
	s_or_b64 exec, exec, s[22:23]
.LBB5_96:                               ;   in Loop: Header=BB5_35 Depth=1
	s_or_b64 exec, exec, s[20:21]
.LBB5_97:                               ;   in Loop: Header=BB5_35 Depth=1
	s_or_b64 exec, exec, s[18:19]
	global_load_dwordx2 v[29:30], v28, s[10:11] offset:40
	global_load_dwordx4 v[22:25], v28, s[10:11]
	v_readfirstlane_b32 s19, v7
	v_readfirstlane_b32 s18, v6
	s_mov_b64 s[20:21], exec
	s_waitcnt vmcnt(1)
	v_readfirstlane_b32 s22, v29
	v_readfirstlane_b32 s23, v30
	s_and_b64 s[22:23], s[22:23], s[18:19]
	s_mul_i32 s24, s23, 24
	s_mul_hi_u32 s25, s22, 24
	s_mul_i32 s29, s22, 24
	s_add_i32 s24, s25, s24
	v_mov_b32_e32 v6, s24
	s_waitcnt vmcnt(0)
	v_add_co_u32_e32 v29, vcc, s29, v22
	v_addc_co_u32_e32 v30, vcc, v23, v6, vcc
	s_and_saveexec_b64 s[24:25], s[2:3]
	s_cbranch_execz .LBB5_99
; %bb.98:                               ;   in Loop: Header=BB5_35 Depth=1
	v_mov_b32_e32 v6, s20
	v_mov_b32_e32 v7, s21
	global_store_dwordx4 v[29:30], v[6:9], off offset:8
.LBB5_99:                               ;   in Loop: Header=BB5_35 Depth=1
	s_or_b64 exec, exec, s[24:25]
	s_lshl_b64 s[20:21], s[22:23], 12
	v_mov_b32_e32 v6, s21
	v_add_co_u32_e32 v24, vcc, s20, v24
	v_addc_co_u32_e32 v25, vcc, v25, v6, vcc
	v_cmp_lt_u64_e64 vcc, s[14:15], 57
	s_lshl_b32 s20, s16, 2
	v_cndmask_b32_e32 v6, 0, v35, vcc
	s_add_i32 s20, s20, 28
	v_and_b32_e32 v2, 0xffffff1f, v2
	s_and_b32 s20, s20, 0x1e0
	v_or_b32_e32 v2, v2, v6
	v_or_b32_e32 v2, s20, v2
	v_readfirstlane_b32 s20, v24
	v_readfirstlane_b32 s21, v25
	s_nop 4
	global_store_dwordx4 v32, v[2:5], s[20:21]
	global_store_dwordx4 v32, v[10:13], s[20:21] offset:16
	global_store_dwordx4 v32, v[14:17], s[20:21] offset:32
	;; [unrolled: 1-line block ×3, first 2 shown]
	s_and_saveexec_b64 s[20:21], s[2:3]
	s_cbranch_execz .LBB5_107
; %bb.100:                              ;   in Loop: Header=BB5_35 Depth=1
	global_load_dwordx2 v[12:13], v28, s[10:11] offset:32 glc
	global_load_dwordx2 v[2:3], v28, s[10:11] offset:40
	v_mov_b32_e32 v10, s18
	v_mov_b32_e32 v11, s19
	s_waitcnt vmcnt(0)
	v_readfirstlane_b32 s22, v2
	v_readfirstlane_b32 s23, v3
	s_and_b64 s[22:23], s[22:23], s[18:19]
	s_mul_i32 s23, s23, 24
	s_mul_hi_u32 s24, s22, 24
	s_mul_i32 s22, s22, 24
	s_add_i32 s23, s24, s23
	v_mov_b32_e32 v2, s23
	v_add_co_u32_e32 v6, vcc, s22, v22
	v_addc_co_u32_e32 v7, vcc, v23, v2, vcc
	global_store_dwordx2 v[6:7], v[12:13], off
	s_waitcnt vmcnt(0)
	global_atomic_cmpswap_x2 v[4:5], v28, v[10:13], s[10:11] offset:32 glc
	s_waitcnt vmcnt(0)
	v_cmp_ne_u64_e32 vcc, v[4:5], v[12:13]
	s_and_saveexec_b64 s[22:23], vcc
	s_cbranch_execz .LBB5_103
; %bb.101:                              ;   in Loop: Header=BB5_35 Depth=1
	s_mov_b64 s[24:25], 0
.LBB5_102:                              ;   Parent Loop BB5_35 Depth=1
                                        ; =>  This Inner Loop Header: Depth=2
	s_sleep 1
	global_store_dwordx2 v[6:7], v[4:5], off
	v_mov_b32_e32 v2, s18
	v_mov_b32_e32 v3, s19
	s_waitcnt vmcnt(0)
	global_atomic_cmpswap_x2 v[2:3], v28, v[2:5], s[10:11] offset:32 glc
	s_waitcnt vmcnt(0)
	v_cmp_eq_u64_e32 vcc, v[2:3], v[4:5]
	v_mov_b32_e32 v5, v3
	s_or_b64 s[24:25], vcc, s[24:25]
	v_mov_b32_e32 v4, v2
	s_andn2_b64 exec, exec, s[24:25]
	s_cbranch_execnz .LBB5_102
.LBB5_103:                              ;   in Loop: Header=BB5_35 Depth=1
	s_or_b64 exec, exec, s[22:23]
	global_load_dwordx2 v[2:3], v28, s[10:11] offset:16
	s_mov_b64 s[24:25], exec
	v_mbcnt_lo_u32_b32 v4, s24, 0
	v_mbcnt_hi_u32_b32 v4, s25, v4
	v_cmp_eq_u32_e32 vcc, 0, v4
	s_and_saveexec_b64 s[22:23], vcc
	s_cbranch_execz .LBB5_105
; %bb.104:                              ;   in Loop: Header=BB5_35 Depth=1
	s_bcnt1_i32_b64 s24, s[24:25]
	v_mov_b32_e32 v27, s24
	s_waitcnt vmcnt(0)
	global_atomic_add_x2 v[2:3], v[27:28], off offset:8
.LBB5_105:                              ;   in Loop: Header=BB5_35 Depth=1
	s_or_b64 exec, exec, s[22:23]
	s_waitcnt vmcnt(0)
	global_load_dwordx2 v[4:5], v[2:3], off offset:16
	s_waitcnt vmcnt(0)
	v_cmp_eq_u64_e32 vcc, 0, v[4:5]
	s_cbranch_vccnz .LBB5_107
; %bb.106:                              ;   in Loop: Header=BB5_35 Depth=1
	global_load_dword v27, v[2:3], off offset:24
	s_waitcnt vmcnt(0)
	v_readfirstlane_b32 s22, v27
	s_and_b32 m0, s22, 0xffffff
	global_store_dwordx2 v[4:5], v[27:28], off
	s_sendmsg sendmsg(MSG_INTERRUPT)
.LBB5_107:                              ;   in Loop: Header=BB5_35 Depth=1
	s_or_b64 exec, exec, s[20:21]
	v_add_co_u32_e32 v2, vcc, v24, v32
	v_addc_co_u32_e32 v3, vcc, 0, v25, vcc
	s_branch .LBB5_111
.LBB5_108:                              ;   in Loop: Header=BB5_111 Depth=2
	s_or_b64 exec, exec, s[20:21]
	v_readfirstlane_b32 s20, v4
	s_cmp_eq_u32 s20, 0
	s_cbranch_scc1 .LBB5_110
; %bb.109:                              ;   in Loop: Header=BB5_111 Depth=2
	s_sleep 1
	s_cbranch_execnz .LBB5_111
	s_branch .LBB5_113
.LBB5_110:                              ;   in Loop: Header=BB5_35 Depth=1
	s_branch .LBB5_113
.LBB5_111:                              ;   Parent Loop BB5_35 Depth=1
                                        ; =>  This Inner Loop Header: Depth=2
	v_mov_b32_e32 v4, 1
	s_and_saveexec_b64 s[20:21], s[2:3]
	s_cbranch_execz .LBB5_108
; %bb.112:                              ;   in Loop: Header=BB5_111 Depth=2
	global_load_dword v4, v[29:30], off offset:20 glc
	s_waitcnt vmcnt(0)
	buffer_wbinvl1_vol
	v_and_b32_e32 v4, 1, v4
	s_branch .LBB5_108
.LBB5_113:                              ;   in Loop: Header=BB5_35 Depth=1
	global_load_dwordx2 v[2:3], v[2:3], off
	s_and_saveexec_b64 s[20:21], s[2:3]
	s_cbranch_execz .LBB5_34
; %bb.114:                              ;   in Loop: Header=BB5_35 Depth=1
	global_load_dwordx2 v[4:5], v28, s[10:11] offset:40
	global_load_dwordx2 v[14:15], v28, s[10:11] offset:24 glc
	global_load_dwordx2 v[6:7], v28, s[10:11]
	s_waitcnt vmcnt(2)
	v_readfirstlane_b32 s22, v4
	v_readfirstlane_b32 s23, v5
	s_add_u32 s24, s22, 1
	s_addc_u32 s25, s23, 0
	s_add_u32 s2, s24, s18
	s_addc_u32 s3, s25, s19
	s_cmp_eq_u64 s[2:3], 0
	s_cselect_b32 s3, s25, s3
	s_cselect_b32 s2, s24, s2
	s_and_b64 s[18:19], s[2:3], s[22:23]
	s_mul_i32 s19, s19, 24
	s_mul_hi_u32 s22, s18, 24
	s_mul_i32 s18, s18, 24
	s_add_i32 s19, s22, s19
	v_mov_b32_e32 v4, s19
	s_waitcnt vmcnt(0)
	v_add_co_u32_e32 v10, vcc, s18, v6
	v_addc_co_u32_e32 v11, vcc, v7, v4, vcc
	v_mov_b32_e32 v12, s2
	global_store_dwordx2 v[10:11], v[14:15], off
	v_mov_b32_e32 v13, s3
	s_waitcnt vmcnt(0)
	global_atomic_cmpswap_x2 v[6:7], v28, v[12:15], s[10:11] offset:24 glc
	s_waitcnt vmcnt(0)
	v_cmp_ne_u64_e32 vcc, v[6:7], v[14:15]
	s_and_b64 exec, exec, vcc
	s_cbranch_execz .LBB5_34
; %bb.115:                              ;   in Loop: Header=BB5_35 Depth=1
	s_mov_b64 s[18:19], 0
.LBB5_116:                              ;   Parent Loop BB5_35 Depth=1
                                        ; =>  This Inner Loop Header: Depth=2
	s_sleep 1
	global_store_dwordx2 v[10:11], v[6:7], off
	v_mov_b32_e32 v4, s2
	v_mov_b32_e32 v5, s3
	s_waitcnt vmcnt(0)
	global_atomic_cmpswap_x2 v[4:5], v28, v[4:7], s[10:11] offset:24 glc
	s_waitcnt vmcnt(0)
	v_cmp_eq_u64_e32 vcc, v[4:5], v[6:7]
	v_mov_b32_e32 v7, v5
	s_or_b64 s[18:19], vcc, s[18:19]
	v_mov_b32_e32 v6, v4
	s_andn2_b64 exec, exec, s[18:19]
	s_cbranch_execnz .LBB5_116
	s_branch .LBB5_34
.LBB5_117:
	s_branch .LBB5_145
.LBB5_118:
                                        ; implicit-def: $vgpr2_vgpr3
	s_cbranch_execz .LBB5_145
; %bb.119:
	v_readfirstlane_b32 s2, v33
	v_mov_b32_e32 v8, 0
	v_mov_b32_e32 v9, 0
	v_cmp_eq_u32_e64 s[2:3], s2, v33
	s_and_saveexec_b64 s[12:13], s[2:3]
	s_cbranch_execz .LBB5_125
; %bb.120:
	s_waitcnt vmcnt(0)
	v_mov_b32_e32 v2, 0
	global_load_dwordx2 v[5:6], v2, s[10:11] offset:24 glc
	s_waitcnt vmcnt(0)
	buffer_wbinvl1_vol
	global_load_dwordx2 v[3:4], v2, s[10:11] offset:40
	global_load_dwordx2 v[7:8], v2, s[10:11]
	s_waitcnt vmcnt(1)
	v_and_b32_e32 v3, v3, v5
	v_and_b32_e32 v4, v4, v6
	v_mul_lo_u32 v4, v4, 24
	v_mul_hi_u32 v9, v3, 24
	v_mul_lo_u32 v3, v3, 24
	v_add_u32_e32 v4, v9, v4
	s_waitcnt vmcnt(0)
	v_add_co_u32_e32 v3, vcc, v7, v3
	v_addc_co_u32_e32 v4, vcc, v8, v4, vcc
	global_load_dwordx2 v[3:4], v[3:4], off glc
	s_waitcnt vmcnt(0)
	global_atomic_cmpswap_x2 v[8:9], v2, v[3:6], s[10:11] offset:24 glc
	s_waitcnt vmcnt(0)
	buffer_wbinvl1_vol
	v_cmp_ne_u64_e32 vcc, v[8:9], v[5:6]
	s_and_saveexec_b64 s[14:15], vcc
	s_cbranch_execz .LBB5_124
; %bb.121:
	s_mov_b64 s[16:17], 0
.LBB5_122:                              ; =>This Inner Loop Header: Depth=1
	s_sleep 1
	global_load_dwordx2 v[3:4], v2, s[10:11] offset:40
	global_load_dwordx2 v[10:11], v2, s[10:11]
	v_mov_b32_e32 v5, v8
	v_mov_b32_e32 v6, v9
	s_waitcnt vmcnt(1)
	v_and_b32_e32 v3, v3, v5
	s_waitcnt vmcnt(0)
	v_mad_u64_u32 v[7:8], s[18:19], v3, 24, v[10:11]
	v_and_b32_e32 v4, v4, v6
	v_mov_b32_e32 v3, v8
	v_mad_u64_u32 v[3:4], s[18:19], v4, 24, v[3:4]
	v_mov_b32_e32 v8, v3
	global_load_dwordx2 v[3:4], v[7:8], off glc
	s_waitcnt vmcnt(0)
	global_atomic_cmpswap_x2 v[8:9], v2, v[3:6], s[10:11] offset:24 glc
	s_waitcnt vmcnt(0)
	buffer_wbinvl1_vol
	v_cmp_eq_u64_e32 vcc, v[8:9], v[5:6]
	s_or_b64 s[16:17], vcc, s[16:17]
	s_andn2_b64 exec, exec, s[16:17]
	s_cbranch_execnz .LBB5_122
; %bb.123:
	s_or_b64 exec, exec, s[16:17]
.LBB5_124:
	s_or_b64 exec, exec, s[14:15]
.LBB5_125:
	s_or_b64 exec, exec, s[12:13]
	s_waitcnt vmcnt(0)
	v_mov_b32_e32 v2, 0
	global_load_dwordx2 v[10:11], v2, s[10:11] offset:40
	global_load_dwordx4 v[4:7], v2, s[10:11]
	v_readfirstlane_b32 s13, v9
	v_readfirstlane_b32 s12, v8
	s_mov_b64 s[14:15], exec
	s_waitcnt vmcnt(1)
	v_readfirstlane_b32 s16, v10
	v_readfirstlane_b32 s17, v11
	s_and_b64 s[16:17], s[16:17], s[12:13]
	s_mul_i32 s18, s17, 24
	s_mul_hi_u32 s19, s16, 24
	s_mul_i32 s20, s16, 24
	s_add_i32 s18, s19, s18
	v_mov_b32_e32 v3, s18
	s_waitcnt vmcnt(0)
	v_add_co_u32_e32 v8, vcc, s20, v4
	v_addc_co_u32_e32 v9, vcc, v5, v3, vcc
	s_and_saveexec_b64 s[18:19], s[2:3]
	s_cbranch_execz .LBB5_127
; %bb.126:
	v_mov_b32_e32 v10, s14
	v_mov_b32_e32 v11, s15
	;; [unrolled: 1-line block ×4, first 2 shown]
	global_store_dwordx4 v[8:9], v[10:13], off offset:8
.LBB5_127:
	s_or_b64 exec, exec, s[18:19]
	s_lshl_b64 s[14:15], s[16:17], 12
	v_mov_b32_e32 v3, s15
	v_add_co_u32_e32 v10, vcc, s14, v6
	v_addc_co_u32_e32 v11, vcc, v7, v3, vcc
	s_movk_i32 s14, 0xff1f
	v_and_or_b32 v0, v0, s14, 32
	s_mov_b32 s16, 0
	v_mov_b32_e32 v3, v2
	v_readfirstlane_b32 s14, v10
	v_readfirstlane_b32 s15, v11
	v_add_co_u32_e32 v6, vcc, v10, v32
	s_mov_b32 s17, s16
	s_mov_b32 s18, s16
	;; [unrolled: 1-line block ×3, first 2 shown]
	s_nop 0
	global_store_dwordx4 v32, v[0:3], s[14:15]
	v_addc_co_u32_e32 v7, vcc, 0, v11, vcc
	v_mov_b32_e32 v0, s16
	v_mov_b32_e32 v1, s17
	;; [unrolled: 1-line block ×4, first 2 shown]
	global_store_dwordx4 v32, v[0:3], s[14:15] offset:16
	global_store_dwordx4 v32, v[0:3], s[14:15] offset:32
	;; [unrolled: 1-line block ×3, first 2 shown]
	s_and_saveexec_b64 s[14:15], s[2:3]
	s_cbranch_execz .LBB5_135
; %bb.128:
	v_mov_b32_e32 v10, 0
	global_load_dwordx2 v[13:14], v10, s[10:11] offset:32 glc
	global_load_dwordx2 v[0:1], v10, s[10:11] offset:40
	v_mov_b32_e32 v11, s12
	v_mov_b32_e32 v12, s13
	s_waitcnt vmcnt(0)
	v_readfirstlane_b32 s16, v0
	v_readfirstlane_b32 s17, v1
	s_and_b64 s[16:17], s[16:17], s[12:13]
	s_mul_i32 s17, s17, 24
	s_mul_hi_u32 s18, s16, 24
	s_mul_i32 s16, s16, 24
	s_add_i32 s17, s18, s17
	v_mov_b32_e32 v0, s17
	v_add_co_u32_e32 v4, vcc, s16, v4
	v_addc_co_u32_e32 v5, vcc, v5, v0, vcc
	global_store_dwordx2 v[4:5], v[13:14], off
	s_waitcnt vmcnt(0)
	global_atomic_cmpswap_x2 v[2:3], v10, v[11:14], s[10:11] offset:32 glc
	s_waitcnt vmcnt(0)
	v_cmp_ne_u64_e32 vcc, v[2:3], v[13:14]
	s_and_saveexec_b64 s[16:17], vcc
	s_cbranch_execz .LBB5_131
; %bb.129:
	s_mov_b64 s[18:19], 0
.LBB5_130:                              ; =>This Inner Loop Header: Depth=1
	s_sleep 1
	global_store_dwordx2 v[4:5], v[2:3], off
	v_mov_b32_e32 v0, s12
	v_mov_b32_e32 v1, s13
	s_waitcnt vmcnt(0)
	global_atomic_cmpswap_x2 v[0:1], v10, v[0:3], s[10:11] offset:32 glc
	s_waitcnt vmcnt(0)
	v_cmp_eq_u64_e32 vcc, v[0:1], v[2:3]
	v_mov_b32_e32 v3, v1
	s_or_b64 s[18:19], vcc, s[18:19]
	v_mov_b32_e32 v2, v0
	s_andn2_b64 exec, exec, s[18:19]
	s_cbranch_execnz .LBB5_130
.LBB5_131:
	s_or_b64 exec, exec, s[16:17]
	v_mov_b32_e32 v3, 0
	global_load_dwordx2 v[0:1], v3, s[10:11] offset:16
	s_mov_b64 s[16:17], exec
	v_mbcnt_lo_u32_b32 v2, s16, 0
	v_mbcnt_hi_u32_b32 v2, s17, v2
	v_cmp_eq_u32_e32 vcc, 0, v2
	s_and_saveexec_b64 s[18:19], vcc
	s_cbranch_execz .LBB5_133
; %bb.132:
	s_bcnt1_i32_b64 s16, s[16:17]
	v_mov_b32_e32 v2, s16
	s_waitcnt vmcnt(0)
	global_atomic_add_x2 v[0:1], v[2:3], off offset:8
.LBB5_133:
	s_or_b64 exec, exec, s[18:19]
	s_waitcnt vmcnt(0)
	global_load_dwordx2 v[2:3], v[0:1], off offset:16
	s_waitcnt vmcnt(0)
	v_cmp_eq_u64_e32 vcc, 0, v[2:3]
	s_cbranch_vccnz .LBB5_135
; %bb.134:
	global_load_dword v0, v[0:1], off offset:24
	v_mov_b32_e32 v1, 0
	s_waitcnt vmcnt(0)
	v_readfirstlane_b32 s16, v0
	s_and_b32 m0, s16, 0xffffff
	global_store_dwordx2 v[2:3], v[0:1], off
	s_sendmsg sendmsg(MSG_INTERRUPT)
.LBB5_135:
	s_or_b64 exec, exec, s[14:15]
	s_branch .LBB5_139
.LBB5_136:                              ;   in Loop: Header=BB5_139 Depth=1
	s_or_b64 exec, exec, s[14:15]
	v_readfirstlane_b32 s14, v0
	s_cmp_eq_u32 s14, 0
	s_cbranch_scc1 .LBB5_138
; %bb.137:                              ;   in Loop: Header=BB5_139 Depth=1
	s_sleep 1
	s_cbranch_execnz .LBB5_139
	s_branch .LBB5_141
.LBB5_138:
	s_branch .LBB5_141
.LBB5_139:                              ; =>This Inner Loop Header: Depth=1
	v_mov_b32_e32 v0, 1
	s_and_saveexec_b64 s[14:15], s[2:3]
	s_cbranch_execz .LBB5_136
; %bb.140:                              ;   in Loop: Header=BB5_139 Depth=1
	global_load_dword v0, v[8:9], off offset:20 glc
	s_waitcnt vmcnt(0)
	buffer_wbinvl1_vol
	v_and_b32_e32 v0, 1, v0
	s_branch .LBB5_136
.LBB5_141:
	global_load_dwordx2 v[2:3], v[6:7], off
	s_and_saveexec_b64 s[14:15], s[2:3]
	s_cbranch_execz .LBB5_144
; %bb.142:
	v_mov_b32_e32 v8, 0
	global_load_dwordx2 v[0:1], v8, s[10:11] offset:40
	global_load_dwordx2 v[11:12], v8, s[10:11] offset:24 glc
	global_load_dwordx2 v[4:5], v8, s[10:11]
	s_waitcnt vmcnt(2)
	v_readfirstlane_b32 s16, v0
	v_readfirstlane_b32 s17, v1
	s_add_u32 s18, s16, 1
	s_addc_u32 s19, s17, 0
	s_add_u32 s2, s18, s12
	s_addc_u32 s3, s19, s13
	s_cmp_eq_u64 s[2:3], 0
	s_cselect_b32 s3, s19, s3
	s_cselect_b32 s2, s18, s2
	s_and_b64 s[12:13], s[2:3], s[16:17]
	s_mul_i32 s13, s13, 24
	s_mul_hi_u32 s16, s12, 24
	s_mul_i32 s12, s12, 24
	s_add_i32 s13, s16, s13
	v_mov_b32_e32 v1, s13
	s_waitcnt vmcnt(0)
	v_add_co_u32_e32 v0, vcc, s12, v4
	v_addc_co_u32_e32 v1, vcc, v5, v1, vcc
	v_mov_b32_e32 v9, s2
	global_store_dwordx2 v[0:1], v[11:12], off
	v_mov_b32_e32 v10, s3
	s_waitcnt vmcnt(0)
	global_atomic_cmpswap_x2 v[6:7], v8, v[9:12], s[10:11] offset:24 glc
	s_mov_b64 s[12:13], 0
	s_waitcnt vmcnt(0)
	v_cmp_ne_u64_e32 vcc, v[6:7], v[11:12]
	s_and_b64 exec, exec, vcc
	s_cbranch_execz .LBB5_144
.LBB5_143:                              ; =>This Inner Loop Header: Depth=1
	s_sleep 1
	global_store_dwordx2 v[0:1], v[6:7], off
	v_mov_b32_e32 v4, s2
	v_mov_b32_e32 v5, s3
	s_waitcnt vmcnt(0)
	global_atomic_cmpswap_x2 v[4:5], v8, v[4:7], s[10:11] offset:24 glc
	s_waitcnt vmcnt(0)
	v_cmp_eq_u64_e32 vcc, v[4:5], v[6:7]
	v_mov_b32_e32 v7, v5
	s_or_b64 s[12:13], vcc, s[12:13]
	v_mov_b32_e32 v6, v4
	s_andn2_b64 exec, exec, s[12:13]
	s_cbranch_execnz .LBB5_143
.LBB5_144:
	s_or_b64 exec, exec, s[14:15]
.LBB5_145:
	v_readfirstlane_b32 s2, v33
	s_waitcnt vmcnt(0)
	v_mov_b32_e32 v0, 0
	v_mov_b32_e32 v1, 0
	v_cmp_eq_u32_e64 s[2:3], s2, v33
	s_and_saveexec_b64 s[12:13], s[2:3]
	s_cbranch_execz .LBB5_151
; %bb.146:
	v_mov_b32_e32 v4, 0
	global_load_dwordx2 v[7:8], v4, s[10:11] offset:24 glc
	s_waitcnt vmcnt(0)
	buffer_wbinvl1_vol
	global_load_dwordx2 v[0:1], v4, s[10:11] offset:40
	global_load_dwordx2 v[5:6], v4, s[10:11]
	s_waitcnt vmcnt(1)
	v_and_b32_e32 v0, v0, v7
	v_and_b32_e32 v1, v1, v8
	v_mul_lo_u32 v1, v1, 24
	v_mul_hi_u32 v9, v0, 24
	v_mul_lo_u32 v0, v0, 24
	v_add_u32_e32 v1, v9, v1
	s_waitcnt vmcnt(0)
	v_add_co_u32_e32 v0, vcc, v5, v0
	v_addc_co_u32_e32 v1, vcc, v6, v1, vcc
	global_load_dwordx2 v[5:6], v[0:1], off glc
	s_waitcnt vmcnt(0)
	global_atomic_cmpswap_x2 v[0:1], v4, v[5:8], s[10:11] offset:24 glc
	s_waitcnt vmcnt(0)
	buffer_wbinvl1_vol
	v_cmp_ne_u64_e32 vcc, v[0:1], v[7:8]
	s_and_saveexec_b64 s[14:15], vcc
	s_cbranch_execz .LBB5_150
; %bb.147:
	s_mov_b64 s[16:17], 0
.LBB5_148:                              ; =>This Inner Loop Header: Depth=1
	s_sleep 1
	global_load_dwordx2 v[5:6], v4, s[10:11] offset:40
	global_load_dwordx2 v[9:10], v4, s[10:11]
	v_mov_b32_e32 v8, v1
	v_mov_b32_e32 v7, v0
	s_waitcnt vmcnt(1)
	v_and_b32_e32 v0, v5, v7
	s_waitcnt vmcnt(0)
	v_mad_u64_u32 v[0:1], s[18:19], v0, 24, v[9:10]
	v_and_b32_e32 v5, v6, v8
	v_mad_u64_u32 v[5:6], s[18:19], v5, 24, v[1:2]
	v_mov_b32_e32 v1, v5
	global_load_dwordx2 v[5:6], v[0:1], off glc
	s_waitcnt vmcnt(0)
	global_atomic_cmpswap_x2 v[0:1], v4, v[5:8], s[10:11] offset:24 glc
	s_waitcnt vmcnt(0)
	buffer_wbinvl1_vol
	v_cmp_eq_u64_e32 vcc, v[0:1], v[7:8]
	s_or_b64 s[16:17], vcc, s[16:17]
	s_andn2_b64 exec, exec, s[16:17]
	s_cbranch_execnz .LBB5_148
; %bb.149:
	s_or_b64 exec, exec, s[16:17]
.LBB5_150:
	s_or_b64 exec, exec, s[14:15]
.LBB5_151:
	s_or_b64 exec, exec, s[12:13]
	v_mov_b32_e32 v5, 0
	global_load_dwordx2 v[10:11], v5, s[10:11] offset:40
	global_load_dwordx4 v[6:9], v5, s[10:11]
	v_readfirstlane_b32 s13, v1
	v_readfirstlane_b32 s12, v0
	s_mov_b64 s[14:15], exec
	s_waitcnt vmcnt(1)
	v_readfirstlane_b32 s16, v10
	v_readfirstlane_b32 s17, v11
	s_and_b64 s[16:17], s[16:17], s[12:13]
	s_mul_i32 s18, s17, 24
	s_mul_hi_u32 s19, s16, 24
	s_mul_i32 s20, s16, 24
	s_add_i32 s18, s19, s18
	v_mov_b32_e32 v0, s18
	s_waitcnt vmcnt(0)
	v_add_co_u32_e32 v10, vcc, s20, v6
	v_addc_co_u32_e32 v11, vcc, v7, v0, vcc
	s_and_saveexec_b64 s[18:19], s[2:3]
	s_cbranch_execz .LBB5_153
; %bb.152:
	v_mov_b32_e32 v12, s14
	v_mov_b32_e32 v13, s15
	;; [unrolled: 1-line block ×4, first 2 shown]
	global_store_dwordx4 v[10:11], v[12:15], off offset:8
.LBB5_153:
	s_or_b64 exec, exec, s[18:19]
	s_lshl_b64 s[14:15], s[16:17], 12
	v_mov_b32_e32 v0, s15
	v_add_co_u32_e32 v1, vcc, s14, v8
	v_addc_co_u32_e32 v0, vcc, v9, v0, vcc
	s_add_i32 s20, s26, -1
	s_movk_i32 s14, 0xff1f
	s_mov_b32 s16, 0
	v_and_or_b32 v2, v2, s14, 32
	v_add_co_u32_e32 v8, vcc, v1, v32
	v_mov_b32_e32 v4, s20
	v_readfirstlane_b32 s14, v1
	v_readfirstlane_b32 s15, v0
	v_addc_co_u32_e32 v9, vcc, 0, v0, vcc
	s_mov_b32 s17, s16
	s_mov_b32 s18, s16
	;; [unrolled: 1-line block ×3, first 2 shown]
	s_nop 0
	global_store_dwordx4 v32, v[2:5], s[14:15]
	v_mov_b32_e32 v0, s16
	v_mov_b32_e32 v1, s17
	v_mov_b32_e32 v2, s18
	v_mov_b32_e32 v3, s19
	global_store_dwordx4 v32, v[0:3], s[14:15] offset:16
	global_store_dwordx4 v32, v[0:3], s[14:15] offset:32
	;; [unrolled: 1-line block ×3, first 2 shown]
	s_and_saveexec_b64 s[14:15], s[2:3]
	s_cbranch_execz .LBB5_161
; %bb.154:
	v_mov_b32_e32 v12, 0
	global_load_dwordx2 v[15:16], v12, s[10:11] offset:32 glc
	global_load_dwordx2 v[0:1], v12, s[10:11] offset:40
	v_mov_b32_e32 v13, s12
	v_mov_b32_e32 v14, s13
	s_waitcnt vmcnt(0)
	v_readfirstlane_b32 s16, v0
	v_readfirstlane_b32 s17, v1
	s_and_b64 s[16:17], s[16:17], s[12:13]
	s_mul_i32 s17, s17, 24
	s_mul_hi_u32 s18, s16, 24
	s_mul_i32 s16, s16, 24
	s_add_i32 s17, s18, s17
	v_mov_b32_e32 v0, s17
	v_add_co_u32_e32 v4, vcc, s16, v6
	v_addc_co_u32_e32 v5, vcc, v7, v0, vcc
	global_store_dwordx2 v[4:5], v[15:16], off
	s_waitcnt vmcnt(0)
	global_atomic_cmpswap_x2 v[2:3], v12, v[13:16], s[10:11] offset:32 glc
	s_waitcnt vmcnt(0)
	v_cmp_ne_u64_e32 vcc, v[2:3], v[15:16]
	s_and_saveexec_b64 s[16:17], vcc
	s_cbranch_execz .LBB5_157
; %bb.155:
	s_mov_b64 s[18:19], 0
.LBB5_156:                              ; =>This Inner Loop Header: Depth=1
	s_sleep 1
	global_store_dwordx2 v[4:5], v[2:3], off
	v_mov_b32_e32 v0, s12
	v_mov_b32_e32 v1, s13
	s_waitcnt vmcnt(0)
	global_atomic_cmpswap_x2 v[0:1], v12, v[0:3], s[10:11] offset:32 glc
	s_waitcnt vmcnt(0)
	v_cmp_eq_u64_e32 vcc, v[0:1], v[2:3]
	v_mov_b32_e32 v3, v1
	s_or_b64 s[18:19], vcc, s[18:19]
	v_mov_b32_e32 v2, v0
	s_andn2_b64 exec, exec, s[18:19]
	s_cbranch_execnz .LBB5_156
.LBB5_157:
	s_or_b64 exec, exec, s[16:17]
	v_mov_b32_e32 v3, 0
	global_load_dwordx2 v[0:1], v3, s[10:11] offset:16
	s_mov_b64 s[16:17], exec
	v_mbcnt_lo_u32_b32 v2, s16, 0
	v_mbcnt_hi_u32_b32 v2, s17, v2
	v_cmp_eq_u32_e32 vcc, 0, v2
	s_and_saveexec_b64 s[18:19], vcc
	s_cbranch_execz .LBB5_159
; %bb.158:
	s_bcnt1_i32_b64 s16, s[16:17]
	v_mov_b32_e32 v2, s16
	s_waitcnt vmcnt(0)
	global_atomic_add_x2 v[0:1], v[2:3], off offset:8
.LBB5_159:
	s_or_b64 exec, exec, s[18:19]
	s_waitcnt vmcnt(0)
	global_load_dwordx2 v[2:3], v[0:1], off offset:16
	s_waitcnt vmcnt(0)
	v_cmp_eq_u64_e32 vcc, 0, v[2:3]
	s_cbranch_vccnz .LBB5_161
; %bb.160:
	global_load_dword v0, v[0:1], off offset:24
	v_mov_b32_e32 v1, 0
	s_waitcnt vmcnt(0)
	v_readfirstlane_b32 s16, v0
	s_and_b32 m0, s16, 0xffffff
	global_store_dwordx2 v[2:3], v[0:1], off
	s_sendmsg sendmsg(MSG_INTERRUPT)
.LBB5_161:
	s_or_b64 exec, exec, s[14:15]
	s_branch .LBB5_165
.LBB5_162:                              ;   in Loop: Header=BB5_165 Depth=1
	s_or_b64 exec, exec, s[14:15]
	v_readfirstlane_b32 s14, v0
	s_cmp_eq_u32 s14, 0
	s_cbranch_scc1 .LBB5_164
; %bb.163:                              ;   in Loop: Header=BB5_165 Depth=1
	s_sleep 1
	s_cbranch_execnz .LBB5_165
	s_branch .LBB5_167
.LBB5_164:
	s_branch .LBB5_167
.LBB5_165:                              ; =>This Inner Loop Header: Depth=1
	v_mov_b32_e32 v0, 1
	s_and_saveexec_b64 s[14:15], s[2:3]
	s_cbranch_execz .LBB5_162
; %bb.166:                              ;   in Loop: Header=BB5_165 Depth=1
	global_load_dword v0, v[10:11], off offset:20 glc
	s_waitcnt vmcnt(0)
	buffer_wbinvl1_vol
	v_and_b32_e32 v0, 1, v0
	s_branch .LBB5_162
.LBB5_167:
	global_load_dwordx2 v[0:1], v[8:9], off
	s_and_saveexec_b64 s[14:15], s[2:3]
	s_cbranch_execz .LBB5_170
; %bb.168:
	v_mov_b32_e32 v8, 0
	global_load_dwordx2 v[2:3], v8, s[10:11] offset:40
	global_load_dwordx2 v[11:12], v8, s[10:11] offset:24 glc
	global_load_dwordx2 v[4:5], v8, s[10:11]
	s_waitcnt vmcnt(2)
	v_readfirstlane_b32 s16, v2
	v_readfirstlane_b32 s17, v3
	s_add_u32 s18, s16, 1
	s_addc_u32 s19, s17, 0
	s_add_u32 s2, s18, s12
	s_addc_u32 s3, s19, s13
	s_cmp_eq_u64 s[2:3], 0
	s_cselect_b32 s3, s19, s3
	s_cselect_b32 s2, s18, s2
	s_and_b64 s[12:13], s[2:3], s[16:17]
	s_mul_i32 s13, s13, 24
	s_mul_hi_u32 s16, s12, 24
	s_mul_i32 s12, s12, 24
	s_add_i32 s13, s16, s13
	v_mov_b32_e32 v2, s13
	s_waitcnt vmcnt(0)
	v_add_co_u32_e32 v6, vcc, s12, v4
	v_addc_co_u32_e32 v7, vcc, v5, v2, vcc
	v_mov_b32_e32 v9, s2
	global_store_dwordx2 v[6:7], v[11:12], off
	v_mov_b32_e32 v10, s3
	s_waitcnt vmcnt(0)
	global_atomic_cmpswap_x2 v[4:5], v8, v[9:12], s[10:11] offset:24 glc
	s_mov_b64 s[12:13], 0
	s_waitcnt vmcnt(0)
	v_cmp_ne_u64_e32 vcc, v[4:5], v[11:12]
	s_and_b64 exec, exec, vcc
	s_cbranch_execz .LBB5_170
.LBB5_169:                              ; =>This Inner Loop Header: Depth=1
	s_sleep 1
	global_store_dwordx2 v[6:7], v[4:5], off
	v_mov_b32_e32 v2, s2
	v_mov_b32_e32 v3, s3
	s_waitcnt vmcnt(0)
	global_atomic_cmpswap_x2 v[2:3], v8, v[2:5], s[10:11] offset:24 glc
	s_waitcnt vmcnt(0)
	v_cmp_eq_u64_e32 vcc, v[2:3], v[4:5]
	v_mov_b32_e32 v5, v3
	s_or_b64 s[12:13], vcc, s[12:13]
	v_mov_b32_e32 v4, v2
	s_andn2_b64 exec, exec, s[12:13]
	s_cbranch_execnz .LBB5_169
.LBB5_170:
	s_or_b64 exec, exec, s[14:15]
	v_readfirstlane_b32 s2, v33
	v_mov_b32_e32 v8, 0
	v_mov_b32_e32 v9, 0
	v_cmp_eq_u32_e64 s[2:3], s2, v33
	s_and_saveexec_b64 s[12:13], s[2:3]
	s_cbranch_execz .LBB5_176
; %bb.171:
	v_mov_b32_e32 v2, 0
	global_load_dwordx2 v[5:6], v2, s[10:11] offset:24 glc
	s_waitcnt vmcnt(0)
	buffer_wbinvl1_vol
	global_load_dwordx2 v[3:4], v2, s[10:11] offset:40
	global_load_dwordx2 v[7:8], v2, s[10:11]
	s_waitcnt vmcnt(1)
	v_and_b32_e32 v3, v3, v5
	v_and_b32_e32 v4, v4, v6
	v_mul_lo_u32 v4, v4, 24
	v_mul_hi_u32 v9, v3, 24
	v_mul_lo_u32 v3, v3, 24
	v_add_u32_e32 v4, v9, v4
	s_waitcnt vmcnt(0)
	v_add_co_u32_e32 v3, vcc, v7, v3
	v_addc_co_u32_e32 v4, vcc, v8, v4, vcc
	global_load_dwordx2 v[3:4], v[3:4], off glc
	s_waitcnt vmcnt(0)
	global_atomic_cmpswap_x2 v[8:9], v2, v[3:6], s[10:11] offset:24 glc
	s_waitcnt vmcnt(0)
	buffer_wbinvl1_vol
	v_cmp_ne_u64_e32 vcc, v[8:9], v[5:6]
	s_and_saveexec_b64 s[14:15], vcc
	s_cbranch_execz .LBB5_175
; %bb.172:
	s_mov_b64 s[16:17], 0
.LBB5_173:                              ; =>This Inner Loop Header: Depth=1
	s_sleep 1
	global_load_dwordx2 v[3:4], v2, s[10:11] offset:40
	global_load_dwordx2 v[10:11], v2, s[10:11]
	v_mov_b32_e32 v5, v8
	v_mov_b32_e32 v6, v9
	s_waitcnt vmcnt(1)
	v_and_b32_e32 v3, v3, v5
	s_waitcnt vmcnt(0)
	v_mad_u64_u32 v[7:8], s[18:19], v3, 24, v[10:11]
	v_and_b32_e32 v4, v4, v6
	v_mov_b32_e32 v3, v8
	v_mad_u64_u32 v[3:4], s[18:19], v4, 24, v[3:4]
	v_mov_b32_e32 v8, v3
	global_load_dwordx2 v[3:4], v[7:8], off glc
	s_waitcnt vmcnt(0)
	global_atomic_cmpswap_x2 v[8:9], v2, v[3:6], s[10:11] offset:24 glc
	s_waitcnt vmcnt(0)
	buffer_wbinvl1_vol
	v_cmp_eq_u64_e32 vcc, v[8:9], v[5:6]
	s_or_b64 s[16:17], vcc, s[16:17]
	s_andn2_b64 exec, exec, s[16:17]
	s_cbranch_execnz .LBB5_173
; %bb.174:
	s_or_b64 exec, exec, s[16:17]
.LBB5_175:
	s_or_b64 exec, exec, s[14:15]
.LBB5_176:
	s_or_b64 exec, exec, s[12:13]
	v_mov_b32_e32 v3, 0
	global_load_dwordx2 v[10:11], v3, s[10:11] offset:40
	global_load_dwordx4 v[4:7], v3, s[10:11]
	v_readfirstlane_b32 s13, v9
	v_readfirstlane_b32 s12, v8
	s_mov_b64 s[14:15], exec
	s_waitcnt vmcnt(1)
	v_readfirstlane_b32 s16, v10
	v_readfirstlane_b32 s17, v11
	s_and_b64 s[16:17], s[16:17], s[12:13]
	s_mul_i32 s18, s17, 24
	s_mul_hi_u32 s19, s16, 24
	s_mul_i32 s21, s16, 24
	s_add_i32 s18, s19, s18
	v_mov_b32_e32 v2, s18
	s_waitcnt vmcnt(0)
	v_add_co_u32_e32 v8, vcc, s21, v4
	v_addc_co_u32_e32 v9, vcc, v5, v2, vcc
	s_and_saveexec_b64 s[18:19], s[2:3]
	s_cbranch_execz .LBB5_178
; %bb.177:
	v_mov_b32_e32 v10, s14
	v_mov_b32_e32 v11, s15
	;; [unrolled: 1-line block ×4, first 2 shown]
	global_store_dwordx4 v[8:9], v[10:13], off offset:8
.LBB5_178:
	s_or_b64 exec, exec, s[18:19]
	s_lshl_b64 s[14:15], s[16:17], 12
	v_mov_b32_e32 v2, s15
	v_add_co_u32_e32 v10, vcc, s14, v6
	v_addc_co_u32_e32 v11, vcc, v7, v2, vcc
	v_cndmask_b32_e64 v2, -1, v34, s[0:1]
	s_movk_i32 s0, 0xff1f
	v_and_or_b32 v0, v0, s0, 32
	v_readfirstlane_b32 s0, v10
	v_readfirstlane_b32 s1, v11
	s_mov_b32 s16, 0
	v_add_co_u32_e32 v6, vcc, v10, v32
	s_mov_b32 s17, s16
	s_mov_b32 s18, s16
	s_nop 0
	global_store_dwordx4 v32, v[0:3], s[0:1]
	s_mov_b32 s19, s16
	v_mov_b32_e32 v0, s16
	v_addc_co_u32_e32 v7, vcc, 0, v11, vcc
	v_mov_b32_e32 v1, s17
	v_mov_b32_e32 v2, s18
	;; [unrolled: 1-line block ×3, first 2 shown]
	global_store_dwordx4 v32, v[0:3], s[0:1] offset:16
	global_store_dwordx4 v32, v[0:3], s[0:1] offset:32
	;; [unrolled: 1-line block ×3, first 2 shown]
	s_and_saveexec_b64 s[0:1], s[2:3]
	s_cbranch_execz .LBB5_186
; %bb.179:
	v_mov_b32_e32 v10, 0
	global_load_dwordx2 v[13:14], v10, s[10:11] offset:32 glc
	global_load_dwordx2 v[0:1], v10, s[10:11] offset:40
	v_mov_b32_e32 v11, s12
	v_mov_b32_e32 v12, s13
	s_waitcnt vmcnt(0)
	v_readfirstlane_b32 s14, v0
	v_readfirstlane_b32 s15, v1
	s_and_b64 s[14:15], s[14:15], s[12:13]
	s_mul_i32 s15, s15, 24
	s_mul_hi_u32 s16, s14, 24
	s_mul_i32 s14, s14, 24
	s_add_i32 s15, s16, s15
	v_mov_b32_e32 v0, s15
	v_add_co_u32_e32 v4, vcc, s14, v4
	v_addc_co_u32_e32 v5, vcc, v5, v0, vcc
	global_store_dwordx2 v[4:5], v[13:14], off
	s_waitcnt vmcnt(0)
	global_atomic_cmpswap_x2 v[2:3], v10, v[11:14], s[10:11] offset:32 glc
	s_waitcnt vmcnt(0)
	v_cmp_ne_u64_e32 vcc, v[2:3], v[13:14]
	s_and_saveexec_b64 s[14:15], vcc
	s_cbranch_execz .LBB5_182
; %bb.180:
	s_mov_b64 s[16:17], 0
.LBB5_181:                              ; =>This Inner Loop Header: Depth=1
	s_sleep 1
	global_store_dwordx2 v[4:5], v[2:3], off
	v_mov_b32_e32 v0, s12
	v_mov_b32_e32 v1, s13
	s_waitcnt vmcnt(0)
	global_atomic_cmpswap_x2 v[0:1], v10, v[0:3], s[10:11] offset:32 glc
	s_waitcnt vmcnt(0)
	v_cmp_eq_u64_e32 vcc, v[0:1], v[2:3]
	v_mov_b32_e32 v3, v1
	s_or_b64 s[16:17], vcc, s[16:17]
	v_mov_b32_e32 v2, v0
	s_andn2_b64 exec, exec, s[16:17]
	s_cbranch_execnz .LBB5_181
.LBB5_182:
	s_or_b64 exec, exec, s[14:15]
	v_mov_b32_e32 v3, 0
	global_load_dwordx2 v[0:1], v3, s[10:11] offset:16
	s_mov_b64 s[14:15], exec
	v_mbcnt_lo_u32_b32 v2, s14, 0
	v_mbcnt_hi_u32_b32 v2, s15, v2
	v_cmp_eq_u32_e32 vcc, 0, v2
	s_and_saveexec_b64 s[16:17], vcc
	s_cbranch_execz .LBB5_184
; %bb.183:
	s_bcnt1_i32_b64 s14, s[14:15]
	v_mov_b32_e32 v2, s14
	s_waitcnt vmcnt(0)
	global_atomic_add_x2 v[0:1], v[2:3], off offset:8
.LBB5_184:
	s_or_b64 exec, exec, s[16:17]
	s_waitcnt vmcnt(0)
	global_load_dwordx2 v[2:3], v[0:1], off offset:16
	s_waitcnt vmcnt(0)
	v_cmp_eq_u64_e32 vcc, 0, v[2:3]
	s_cbranch_vccnz .LBB5_186
; %bb.185:
	global_load_dword v0, v[0:1], off offset:24
	v_mov_b32_e32 v1, 0
	s_waitcnt vmcnt(0)
	v_readfirstlane_b32 s14, v0
	s_and_b32 m0, s14, 0xffffff
	global_store_dwordx2 v[2:3], v[0:1], off
	s_sendmsg sendmsg(MSG_INTERRUPT)
.LBB5_186:
	s_or_b64 exec, exec, s[0:1]
	s_branch .LBB5_190
.LBB5_187:                              ;   in Loop: Header=BB5_190 Depth=1
	s_or_b64 exec, exec, s[0:1]
	v_readfirstlane_b32 s0, v0
	s_cmp_eq_u32 s0, 0
	s_cbranch_scc1 .LBB5_189
; %bb.188:                              ;   in Loop: Header=BB5_190 Depth=1
	s_sleep 1
	s_cbranch_execnz .LBB5_190
	s_branch .LBB5_192
.LBB5_189:
	s_branch .LBB5_192
.LBB5_190:                              ; =>This Inner Loop Header: Depth=1
	v_mov_b32_e32 v0, 1
	s_and_saveexec_b64 s[0:1], s[2:3]
	s_cbranch_execz .LBB5_187
; %bb.191:                              ;   in Loop: Header=BB5_190 Depth=1
	global_load_dword v0, v[8:9], off offset:20 glc
	s_waitcnt vmcnt(0)
	buffer_wbinvl1_vol
	v_and_b32_e32 v0, 1, v0
	s_branch .LBB5_187
.LBB5_192:
	global_load_dwordx2 v[0:1], v[6:7], off
	s_and_saveexec_b64 s[0:1], s[2:3]
	s_cbranch_execz .LBB5_195
; %bb.193:
	v_mov_b32_e32 v8, 0
	global_load_dwordx2 v[2:3], v8, s[10:11] offset:40
	global_load_dwordx2 v[11:12], v8, s[10:11] offset:24 glc
	global_load_dwordx2 v[4:5], v8, s[10:11]
	s_waitcnt vmcnt(2)
	v_readfirstlane_b32 s14, v2
	v_readfirstlane_b32 s15, v3
	s_add_u32 s16, s14, 1
	s_addc_u32 s17, s15, 0
	s_add_u32 s2, s16, s12
	s_addc_u32 s3, s17, s13
	s_cmp_eq_u64 s[2:3], 0
	s_cselect_b32 s3, s17, s3
	s_cselect_b32 s2, s16, s2
	s_and_b64 s[12:13], s[2:3], s[14:15]
	s_mul_i32 s13, s13, 24
	s_mul_hi_u32 s14, s12, 24
	s_mul_i32 s12, s12, 24
	s_add_i32 s13, s14, s13
	v_mov_b32_e32 v2, s13
	s_waitcnt vmcnt(0)
	v_add_co_u32_e32 v6, vcc, s12, v4
	v_addc_co_u32_e32 v7, vcc, v5, v2, vcc
	v_mov_b32_e32 v9, s2
	global_store_dwordx2 v[6:7], v[11:12], off
	v_mov_b32_e32 v10, s3
	s_waitcnt vmcnt(0)
	global_atomic_cmpswap_x2 v[4:5], v8, v[9:12], s[10:11] offset:24 glc
	s_mov_b64 s[12:13], 0
	s_waitcnt vmcnt(0)
	v_cmp_ne_u64_e32 vcc, v[4:5], v[11:12]
	s_and_b64 exec, exec, vcc
	s_cbranch_execz .LBB5_195
.LBB5_194:                              ; =>This Inner Loop Header: Depth=1
	s_sleep 1
	global_store_dwordx2 v[6:7], v[4:5], off
	v_mov_b32_e32 v2, s2
	v_mov_b32_e32 v3, s3
	s_waitcnt vmcnt(0)
	global_atomic_cmpswap_x2 v[2:3], v8, v[2:5], s[10:11] offset:24 glc
	s_waitcnt vmcnt(0)
	v_cmp_eq_u64_e32 vcc, v[2:3], v[4:5]
	v_mov_b32_e32 v5, v3
	s_or_b64 s[12:13], vcc, s[12:13]
	v_mov_b32_e32 v4, v2
	s_andn2_b64 exec, exec, s[12:13]
	s_cbranch_execnz .LBB5_194
.LBB5_195:
	s_or_b64 exec, exec, s[0:1]
	v_readfirstlane_b32 s0, v33
	v_mov_b32_e32 v8, 0
	v_mov_b32_e32 v9, 0
	v_cmp_eq_u32_e64 s[0:1], s0, v33
	s_and_saveexec_b64 s[2:3], s[0:1]
	s_cbranch_execz .LBB5_201
; %bb.196:
	v_mov_b32_e32 v2, 0
	global_load_dwordx2 v[5:6], v2, s[10:11] offset:24 glc
	s_waitcnt vmcnt(0)
	buffer_wbinvl1_vol
	global_load_dwordx2 v[3:4], v2, s[10:11] offset:40
	global_load_dwordx2 v[7:8], v2, s[10:11]
	s_waitcnt vmcnt(1)
	v_and_b32_e32 v3, v3, v5
	v_and_b32_e32 v4, v4, v6
	v_mul_lo_u32 v4, v4, 24
	v_mul_hi_u32 v9, v3, 24
	v_mul_lo_u32 v3, v3, 24
	v_add_u32_e32 v4, v9, v4
	s_waitcnt vmcnt(0)
	v_add_co_u32_e32 v3, vcc, v7, v3
	v_addc_co_u32_e32 v4, vcc, v8, v4, vcc
	global_load_dwordx2 v[3:4], v[3:4], off glc
	s_waitcnt vmcnt(0)
	global_atomic_cmpswap_x2 v[8:9], v2, v[3:6], s[10:11] offset:24 glc
	s_waitcnt vmcnt(0)
	buffer_wbinvl1_vol
	v_cmp_ne_u64_e32 vcc, v[8:9], v[5:6]
	s_and_saveexec_b64 s[12:13], vcc
	s_cbranch_execz .LBB5_200
; %bb.197:
	s_mov_b64 s[14:15], 0
.LBB5_198:                              ; =>This Inner Loop Header: Depth=1
	s_sleep 1
	global_load_dwordx2 v[3:4], v2, s[10:11] offset:40
	global_load_dwordx2 v[10:11], v2, s[10:11]
	v_mov_b32_e32 v5, v8
	v_mov_b32_e32 v6, v9
	s_waitcnt vmcnt(1)
	v_and_b32_e32 v3, v3, v5
	s_waitcnt vmcnt(0)
	v_mad_u64_u32 v[7:8], s[16:17], v3, 24, v[10:11]
	v_and_b32_e32 v4, v4, v6
	v_mov_b32_e32 v3, v8
	v_mad_u64_u32 v[3:4], s[16:17], v4, 24, v[3:4]
	v_mov_b32_e32 v8, v3
	global_load_dwordx2 v[3:4], v[7:8], off glc
	s_waitcnt vmcnt(0)
	global_atomic_cmpswap_x2 v[8:9], v2, v[3:6], s[10:11] offset:24 glc
	s_waitcnt vmcnt(0)
	buffer_wbinvl1_vol
	v_cmp_eq_u64_e32 vcc, v[8:9], v[5:6]
	s_or_b64 s[14:15], vcc, s[14:15]
	s_andn2_b64 exec, exec, s[14:15]
	s_cbranch_execnz .LBB5_198
; %bb.199:
	s_or_b64 exec, exec, s[14:15]
.LBB5_200:
	s_or_b64 exec, exec, s[12:13]
.LBB5_201:
	s_or_b64 exec, exec, s[2:3]
	v_mov_b32_e32 v3, 0
	global_load_dwordx2 v[10:11], v3, s[10:11] offset:40
	global_load_dwordx4 v[4:7], v3, s[10:11]
	v_readfirstlane_b32 s3, v9
	v_readfirstlane_b32 s2, v8
	s_mov_b64 s[12:13], exec
	s_waitcnt vmcnt(1)
	v_readfirstlane_b32 s14, v10
	v_readfirstlane_b32 s15, v11
	s_and_b64 s[14:15], s[14:15], s[2:3]
	s_mul_i32 s16, s15, 24
	s_mul_hi_u32 s17, s14, 24
	s_mul_i32 s18, s14, 24
	s_add_i32 s16, s17, s16
	v_mov_b32_e32 v2, s16
	s_waitcnt vmcnt(0)
	v_add_co_u32_e32 v8, vcc, s18, v4
	v_addc_co_u32_e32 v9, vcc, v5, v2, vcc
	s_and_saveexec_b64 s[16:17], s[0:1]
	s_cbranch_execz .LBB5_203
; %bb.202:
	v_mov_b32_e32 v10, s12
	v_mov_b32_e32 v11, s13
	;; [unrolled: 1-line block ×4, first 2 shown]
	global_store_dwordx4 v[8:9], v[10:13], off offset:8
.LBB5_203:
	s_or_b64 exec, exec, s[16:17]
	s_lshl_b64 s[12:13], s[14:15], 12
	v_mov_b32_e32 v2, s13
	v_add_co_u32_e32 v6, vcc, s12, v6
	s_mul_i32 s20, s20, s26
	v_addc_co_u32_e32 v7, vcc, v7, v2, vcc
	s_lshr_b32 s13, s20, 1
	s_movk_i32 s14, 0xff1d
	s_mov_b32 s12, 0
	v_and_or_b32 v0, v0, s14, 34
	v_mov_b32_e32 v2, s13
	v_readfirstlane_b32 s16, v6
	v_readfirstlane_b32 s17, v7
	s_mov_b32 s13, s12
	s_mov_b32 s14, s12
	;; [unrolled: 1-line block ×3, first 2 shown]
	s_nop 1
	global_store_dwordx4 v32, v[0:3], s[16:17]
	s_nop 0
	v_mov_b32_e32 v0, s12
	v_mov_b32_e32 v1, s13
	;; [unrolled: 1-line block ×4, first 2 shown]
	global_store_dwordx4 v32, v[0:3], s[16:17] offset:16
	global_store_dwordx4 v32, v[0:3], s[16:17] offset:32
	;; [unrolled: 1-line block ×3, first 2 shown]
	s_and_saveexec_b64 s[12:13], s[0:1]
	s_cbranch_execz .LBB5_211
; %bb.204:
	v_mov_b32_e32 v6, 0
	global_load_dwordx2 v[12:13], v6, s[10:11] offset:32 glc
	global_load_dwordx2 v[0:1], v6, s[10:11] offset:40
	v_mov_b32_e32 v10, s2
	v_mov_b32_e32 v11, s3
	s_waitcnt vmcnt(0)
	v_readfirstlane_b32 s14, v0
	v_readfirstlane_b32 s15, v1
	s_and_b64 s[14:15], s[14:15], s[2:3]
	s_mul_i32 s15, s15, 24
	s_mul_hi_u32 s16, s14, 24
	s_mul_i32 s14, s14, 24
	s_add_i32 s15, s16, s15
	v_mov_b32_e32 v0, s15
	v_add_co_u32_e32 v4, vcc, s14, v4
	v_addc_co_u32_e32 v5, vcc, v5, v0, vcc
	global_store_dwordx2 v[4:5], v[12:13], off
	s_waitcnt vmcnt(0)
	global_atomic_cmpswap_x2 v[2:3], v6, v[10:13], s[10:11] offset:32 glc
	s_waitcnt vmcnt(0)
	v_cmp_ne_u64_e32 vcc, v[2:3], v[12:13]
	s_and_saveexec_b64 s[14:15], vcc
	s_cbranch_execz .LBB5_207
; %bb.205:
	s_mov_b64 s[16:17], 0
.LBB5_206:                              ; =>This Inner Loop Header: Depth=1
	s_sleep 1
	global_store_dwordx2 v[4:5], v[2:3], off
	v_mov_b32_e32 v0, s2
	v_mov_b32_e32 v1, s3
	s_waitcnt vmcnt(0)
	global_atomic_cmpswap_x2 v[0:1], v6, v[0:3], s[10:11] offset:32 glc
	s_waitcnt vmcnt(0)
	v_cmp_eq_u64_e32 vcc, v[0:1], v[2:3]
	v_mov_b32_e32 v3, v1
	s_or_b64 s[16:17], vcc, s[16:17]
	v_mov_b32_e32 v2, v0
	s_andn2_b64 exec, exec, s[16:17]
	s_cbranch_execnz .LBB5_206
.LBB5_207:
	s_or_b64 exec, exec, s[14:15]
	v_mov_b32_e32 v3, 0
	global_load_dwordx2 v[0:1], v3, s[10:11] offset:16
	s_mov_b64 s[14:15], exec
	v_mbcnt_lo_u32_b32 v2, s14, 0
	v_mbcnt_hi_u32_b32 v2, s15, v2
	v_cmp_eq_u32_e32 vcc, 0, v2
	s_and_saveexec_b64 s[16:17], vcc
	s_cbranch_execz .LBB5_209
; %bb.208:
	s_bcnt1_i32_b64 s14, s[14:15]
	v_mov_b32_e32 v2, s14
	s_waitcnt vmcnt(0)
	global_atomic_add_x2 v[0:1], v[2:3], off offset:8
.LBB5_209:
	s_or_b64 exec, exec, s[16:17]
	s_waitcnt vmcnt(0)
	global_load_dwordx2 v[2:3], v[0:1], off offset:16
	s_waitcnt vmcnt(0)
	v_cmp_eq_u64_e32 vcc, 0, v[2:3]
	s_cbranch_vccnz .LBB5_211
; %bb.210:
	global_load_dword v0, v[0:1], off offset:24
	v_mov_b32_e32 v1, 0
	s_waitcnt vmcnt(0)
	v_readfirstlane_b32 s14, v0
	s_and_b32 m0, s14, 0xffffff
	global_store_dwordx2 v[2:3], v[0:1], off
	s_sendmsg sendmsg(MSG_INTERRUPT)
.LBB5_211:
	s_or_b64 exec, exec, s[12:13]
	s_branch .LBB5_215
.LBB5_212:                              ;   in Loop: Header=BB5_215 Depth=1
	s_or_b64 exec, exec, s[12:13]
	v_readfirstlane_b32 s12, v0
	s_cmp_eq_u32 s12, 0
	s_cbranch_scc1 .LBB5_214
; %bb.213:                              ;   in Loop: Header=BB5_215 Depth=1
	s_sleep 1
	s_cbranch_execnz .LBB5_215
	s_branch .LBB5_217
.LBB5_214:
	s_branch .LBB5_217
.LBB5_215:                              ; =>This Inner Loop Header: Depth=1
	v_mov_b32_e32 v0, 1
	s_and_saveexec_b64 s[12:13], s[0:1]
	s_cbranch_execz .LBB5_212
; %bb.216:                              ;   in Loop: Header=BB5_215 Depth=1
	global_load_dword v0, v[8:9], off offset:20 glc
	s_waitcnt vmcnt(0)
	buffer_wbinvl1_vol
	v_and_b32_e32 v0, 1, v0
	s_branch .LBB5_212
.LBB5_217:
	s_and_saveexec_b64 s[12:13], s[0:1]
	s_cbranch_execz .LBB5_220
; %bb.218:
	v_mov_b32_e32 v6, 0
	global_load_dwordx2 v[0:1], v6, s[10:11] offset:40
	global_load_dwordx2 v[9:10], v6, s[10:11] offset:24 glc
	global_load_dwordx2 v[2:3], v6, s[10:11]
	s_waitcnt vmcnt(2)
	v_readfirstlane_b32 s14, v0
	v_readfirstlane_b32 s15, v1
	s_add_u32 s16, s14, 1
	s_addc_u32 s17, s15, 0
	s_add_u32 s0, s16, s2
	s_addc_u32 s1, s17, s3
	s_cmp_eq_u64 s[0:1], 0
	s_cselect_b32 s1, s17, s1
	s_cselect_b32 s0, s16, s0
	s_and_b64 s[2:3], s[0:1], s[14:15]
	s_mul_i32 s3, s3, 24
	s_mul_hi_u32 s14, s2, 24
	s_mul_i32 s2, s2, 24
	s_add_i32 s3, s14, s3
	v_mov_b32_e32 v0, s3
	s_waitcnt vmcnt(0)
	v_add_co_u32_e32 v4, vcc, s2, v2
	v_addc_co_u32_e32 v5, vcc, v3, v0, vcc
	v_mov_b32_e32 v7, s0
	global_store_dwordx2 v[4:5], v[9:10], off
	v_mov_b32_e32 v8, s1
	s_waitcnt vmcnt(0)
	global_atomic_cmpswap_x2 v[2:3], v6, v[7:10], s[10:11] offset:24 glc
	s_mov_b64 s[2:3], 0
	s_waitcnt vmcnt(0)
	v_cmp_ne_u64_e32 vcc, v[2:3], v[9:10]
	s_and_b64 exec, exec, vcc
	s_cbranch_execz .LBB5_220
.LBB5_219:                              ; =>This Inner Loop Header: Depth=1
	s_sleep 1
	global_store_dwordx2 v[4:5], v[2:3], off
	v_mov_b32_e32 v0, s0
	v_mov_b32_e32 v1, s1
	s_waitcnt vmcnt(0)
	global_atomic_cmpswap_x2 v[0:1], v6, v[0:3], s[10:11] offset:24 glc
	s_waitcnt vmcnt(0)
	v_cmp_eq_u64_e32 vcc, v[0:1], v[2:3]
	v_mov_b32_e32 v3, v1
	s_or_b64 s[2:3], vcc, s[2:3]
	v_mov_b32_e32 v2, v0
	s_andn2_b64 exec, exec, s[2:3]
	s_cbranch_execnz .LBB5_219
.LBB5_220:
	s_or_b64 exec, exec, s[12:13]
	v_readfirstlane_b32 s0, v33
	v_mov_b32_e32 v5, 0
	v_mov_b32_e32 v6, 0
	v_cmp_eq_u32_e64 s[0:1], s0, v33
	s_and_saveexec_b64 s[2:3], s[0:1]
	s_cbranch_execz .LBB5_226
; %bb.221:
	v_mov_b32_e32 v0, 0
	global_load_dwordx2 v[3:4], v0, s[10:11] offset:24 glc
	s_waitcnt vmcnt(0)
	buffer_wbinvl1_vol
	global_load_dwordx2 v[1:2], v0, s[10:11] offset:40
	global_load_dwordx2 v[5:6], v0, s[10:11]
	s_waitcnt vmcnt(1)
	v_and_b32_e32 v1, v1, v3
	v_and_b32_e32 v2, v2, v4
	v_mul_lo_u32 v2, v2, 24
	v_mul_hi_u32 v7, v1, 24
	v_mul_lo_u32 v1, v1, 24
	v_add_u32_e32 v2, v7, v2
	s_waitcnt vmcnt(0)
	v_add_co_u32_e32 v1, vcc, v5, v1
	v_addc_co_u32_e32 v2, vcc, v6, v2, vcc
	global_load_dwordx2 v[1:2], v[1:2], off glc
	s_waitcnt vmcnt(0)
	global_atomic_cmpswap_x2 v[5:6], v0, v[1:4], s[10:11] offset:24 glc
	s_waitcnt vmcnt(0)
	buffer_wbinvl1_vol
	v_cmp_ne_u64_e32 vcc, v[5:6], v[3:4]
	s_and_saveexec_b64 s[12:13], vcc
	s_cbranch_execz .LBB5_225
; %bb.222:
	s_mov_b64 s[14:15], 0
.LBB5_223:                              ; =>This Inner Loop Header: Depth=1
	s_sleep 1
	global_load_dwordx2 v[1:2], v0, s[10:11] offset:40
	global_load_dwordx2 v[7:8], v0, s[10:11]
	v_mov_b32_e32 v3, v5
	v_mov_b32_e32 v4, v6
	s_waitcnt vmcnt(1)
	v_and_b32_e32 v1, v1, v3
	s_waitcnt vmcnt(0)
	v_mad_u64_u32 v[5:6], s[16:17], v1, 24, v[7:8]
	v_and_b32_e32 v2, v2, v4
	v_mov_b32_e32 v1, v6
	v_mad_u64_u32 v[1:2], s[16:17], v2, 24, v[1:2]
	v_mov_b32_e32 v6, v1
	global_load_dwordx2 v[1:2], v[5:6], off glc
	s_waitcnt vmcnt(0)
	global_atomic_cmpswap_x2 v[5:6], v0, v[1:4], s[10:11] offset:24 glc
	s_waitcnt vmcnt(0)
	buffer_wbinvl1_vol
	v_cmp_eq_u64_e32 vcc, v[5:6], v[3:4]
	s_or_b64 s[14:15], vcc, s[14:15]
	s_andn2_b64 exec, exec, s[14:15]
	s_cbranch_execnz .LBB5_223
; %bb.224:
	s_or_b64 exec, exec, s[14:15]
.LBB5_225:
	s_or_b64 exec, exec, s[12:13]
.LBB5_226:
	s_or_b64 exec, exec, s[2:3]
	v_mov_b32_e32 v4, 0
	global_load_dwordx2 v[7:8], v4, s[10:11] offset:40
	global_load_dwordx4 v[0:3], v4, s[10:11]
	v_readfirstlane_b32 s3, v6
	v_readfirstlane_b32 s2, v5
	s_mov_b64 s[12:13], exec
	s_waitcnt vmcnt(1)
	v_readfirstlane_b32 s14, v7
	v_readfirstlane_b32 s15, v8
	s_and_b64 s[14:15], s[14:15], s[2:3]
	s_mul_i32 s16, s15, 24
	s_mul_hi_u32 s17, s14, 24
	s_mul_i32 s18, s14, 24
	s_add_i32 s16, s17, s16
	v_mov_b32_e32 v5, s16
	s_waitcnt vmcnt(0)
	v_add_co_u32_e32 v7, vcc, s18, v0
	v_addc_co_u32_e32 v8, vcc, v1, v5, vcc
	s_and_saveexec_b64 s[16:17], s[0:1]
	s_cbranch_execz .LBB5_228
; %bb.227:
	v_mov_b32_e32 v9, s12
	v_mov_b32_e32 v10, s13
	;; [unrolled: 1-line block ×4, first 2 shown]
	global_store_dwordx4 v[7:8], v[9:12], off offset:8
.LBB5_228:
	s_or_b64 exec, exec, s[16:17]
	s_lshl_b64 s[12:13], s[14:15], 12
	v_mov_b32_e32 v5, s13
	v_add_co_u32_e32 v2, vcc, s12, v2
	v_addc_co_u32_e32 v11, vcc, v3, v5, vcc
	s_mov_b32 s12, 0
	v_mov_b32_e32 v3, 33
	v_mov_b32_e32 v5, v4
	;; [unrolled: 1-line block ×3, first 2 shown]
	v_readfirstlane_b32 s16, v2
	v_readfirstlane_b32 s17, v11
	v_add_co_u32_e32 v9, vcc, v2, v32
	s_mov_b32 s13, s12
	s_mov_b32 s14, s12
	;; [unrolled: 1-line block ×3, first 2 shown]
	s_nop 0
	global_store_dwordx4 v32, v[3:6], s[16:17]
	v_mov_b32_e32 v2, s12
	v_addc_co_u32_e32 v10, vcc, 0, v11, vcc
	v_mov_b32_e32 v3, s13
	v_mov_b32_e32 v4, s14
	;; [unrolled: 1-line block ×3, first 2 shown]
	global_store_dwordx4 v32, v[2:5], s[16:17] offset:16
	global_store_dwordx4 v32, v[2:5], s[16:17] offset:32
	;; [unrolled: 1-line block ×3, first 2 shown]
	s_and_saveexec_b64 s[12:13], s[0:1]
	s_cbranch_execz .LBB5_236
; %bb.229:
	v_mov_b32_e32 v6, 0
	global_load_dwordx2 v[13:14], v6, s[10:11] offset:32 glc
	global_load_dwordx2 v[2:3], v6, s[10:11] offset:40
	v_mov_b32_e32 v11, s2
	v_mov_b32_e32 v12, s3
	s_waitcnt vmcnt(0)
	v_readfirstlane_b32 s14, v2
	v_readfirstlane_b32 s15, v3
	s_and_b64 s[14:15], s[14:15], s[2:3]
	s_mul_i32 s15, s15, 24
	s_mul_hi_u32 s16, s14, 24
	s_mul_i32 s14, s14, 24
	s_add_i32 s15, s16, s15
	v_mov_b32_e32 v2, s15
	v_add_co_u32_e32 v4, vcc, s14, v0
	v_addc_co_u32_e32 v5, vcc, v1, v2, vcc
	global_store_dwordx2 v[4:5], v[13:14], off
	s_waitcnt vmcnt(0)
	global_atomic_cmpswap_x2 v[2:3], v6, v[11:14], s[10:11] offset:32 glc
	s_waitcnt vmcnt(0)
	v_cmp_ne_u64_e32 vcc, v[2:3], v[13:14]
	s_and_saveexec_b64 s[14:15], vcc
	s_cbranch_execz .LBB5_232
; %bb.230:
	s_mov_b64 s[16:17], 0
.LBB5_231:                              ; =>This Inner Loop Header: Depth=1
	s_sleep 1
	global_store_dwordx2 v[4:5], v[2:3], off
	v_mov_b32_e32 v0, s2
	v_mov_b32_e32 v1, s3
	s_waitcnt vmcnt(0)
	global_atomic_cmpswap_x2 v[0:1], v6, v[0:3], s[10:11] offset:32 glc
	s_waitcnt vmcnt(0)
	v_cmp_eq_u64_e32 vcc, v[0:1], v[2:3]
	v_mov_b32_e32 v3, v1
	s_or_b64 s[16:17], vcc, s[16:17]
	v_mov_b32_e32 v2, v0
	s_andn2_b64 exec, exec, s[16:17]
	s_cbranch_execnz .LBB5_231
.LBB5_232:
	s_or_b64 exec, exec, s[14:15]
	v_mov_b32_e32 v3, 0
	global_load_dwordx2 v[0:1], v3, s[10:11] offset:16
	s_mov_b64 s[14:15], exec
	v_mbcnt_lo_u32_b32 v2, s14, 0
	v_mbcnt_hi_u32_b32 v2, s15, v2
	v_cmp_eq_u32_e32 vcc, 0, v2
	s_and_saveexec_b64 s[16:17], vcc
	s_cbranch_execz .LBB5_234
; %bb.233:
	s_bcnt1_i32_b64 s14, s[14:15]
	v_mov_b32_e32 v2, s14
	s_waitcnt vmcnt(0)
	global_atomic_add_x2 v[0:1], v[2:3], off offset:8
.LBB5_234:
	s_or_b64 exec, exec, s[16:17]
	s_waitcnt vmcnt(0)
	global_load_dwordx2 v[2:3], v[0:1], off offset:16
	s_waitcnt vmcnt(0)
	v_cmp_eq_u64_e32 vcc, 0, v[2:3]
	s_cbranch_vccnz .LBB5_236
; %bb.235:
	global_load_dword v0, v[0:1], off offset:24
	v_mov_b32_e32 v1, 0
	s_waitcnt vmcnt(0)
	v_readfirstlane_b32 s14, v0
	s_and_b32 m0, s14, 0xffffff
	global_store_dwordx2 v[2:3], v[0:1], off
	s_sendmsg sendmsg(MSG_INTERRUPT)
.LBB5_236:
	s_or_b64 exec, exec, s[12:13]
	s_branch .LBB5_240
.LBB5_237:                              ;   in Loop: Header=BB5_240 Depth=1
	s_or_b64 exec, exec, s[12:13]
	v_readfirstlane_b32 s12, v0
	s_cmp_eq_u32 s12, 0
	s_cbranch_scc1 .LBB5_239
; %bb.238:                              ;   in Loop: Header=BB5_240 Depth=1
	s_sleep 1
	s_cbranch_execnz .LBB5_240
	s_branch .LBB5_242
.LBB5_239:
	s_branch .LBB5_242
.LBB5_240:                              ; =>This Inner Loop Header: Depth=1
	v_mov_b32_e32 v0, 1
	s_and_saveexec_b64 s[12:13], s[0:1]
	s_cbranch_execz .LBB5_237
; %bb.241:                              ;   in Loop: Header=BB5_240 Depth=1
	global_load_dword v0, v[7:8], off offset:20 glc
	s_waitcnt vmcnt(0)
	buffer_wbinvl1_vol
	v_and_b32_e32 v0, 1, v0
	s_branch .LBB5_237
.LBB5_242:
	global_load_dwordx2 v[0:1], v[9:10], off
	s_and_saveexec_b64 s[12:13], s[0:1]
	s_cbranch_execz .LBB5_245
; %bb.243:
	v_mov_b32_e32 v8, 0
	global_load_dwordx2 v[2:3], v8, s[10:11] offset:40
	global_load_dwordx2 v[11:12], v8, s[10:11] offset:24 glc
	global_load_dwordx2 v[4:5], v8, s[10:11]
	s_waitcnt vmcnt(2)
	v_readfirstlane_b32 s14, v2
	v_readfirstlane_b32 s15, v3
	s_add_u32 s16, s14, 1
	s_addc_u32 s17, s15, 0
	s_add_u32 s0, s16, s2
	s_addc_u32 s1, s17, s3
	s_cmp_eq_u64 s[0:1], 0
	s_cselect_b32 s1, s17, s1
	s_cselect_b32 s0, s16, s0
	s_and_b64 s[2:3], s[0:1], s[14:15]
	s_mul_i32 s3, s3, 24
	s_mul_hi_u32 s14, s2, 24
	s_mul_i32 s2, s2, 24
	s_add_i32 s3, s14, s3
	v_mov_b32_e32 v2, s3
	s_waitcnt vmcnt(0)
	v_add_co_u32_e32 v6, vcc, s2, v4
	v_addc_co_u32_e32 v7, vcc, v5, v2, vcc
	v_mov_b32_e32 v9, s0
	global_store_dwordx2 v[6:7], v[11:12], off
	v_mov_b32_e32 v10, s1
	s_waitcnt vmcnt(0)
	global_atomic_cmpswap_x2 v[4:5], v8, v[9:12], s[10:11] offset:24 glc
	s_mov_b64 s[2:3], 0
	s_waitcnt vmcnt(0)
	v_cmp_ne_u64_e32 vcc, v[4:5], v[11:12]
	s_and_b64 exec, exec, vcc
	s_cbranch_execz .LBB5_245
.LBB5_244:                              ; =>This Inner Loop Header: Depth=1
	s_sleep 1
	global_store_dwordx2 v[6:7], v[4:5], off
	v_mov_b32_e32 v2, s0
	v_mov_b32_e32 v3, s1
	s_waitcnt vmcnt(0)
	global_atomic_cmpswap_x2 v[2:3], v8, v[2:5], s[10:11] offset:24 glc
	s_waitcnt vmcnt(0)
	v_cmp_eq_u64_e32 vcc, v[2:3], v[4:5]
	v_mov_b32_e32 v5, v3
	s_or_b64 s[2:3], vcc, s[2:3]
	v_mov_b32_e32 v4, v2
	s_andn2_b64 exec, exec, s[2:3]
	s_cbranch_execnz .LBB5_244
.LBB5_245:
	s_or_b64 exec, exec, s[12:13]
	s_getpc_b64 s[2:3]
	s_add_u32 s2, s2, .str.1@rel32@lo+4
	s_addc_u32 s3, s3, .str.1@rel32@hi+12
	s_cmp_lg_u64 s[2:3], 0
	s_cbranch_scc0 .LBB5_331
; %bb.246:
	s_waitcnt vmcnt(0)
	v_and_b32_e32 v34, 2, v0
	v_mov_b32_e32 v28, 0
	v_and_b32_e32 v2, -3, v0
	v_mov_b32_e32 v3, v1
	s_mov_b64 s[12:13], 48
	v_mov_b32_e32 v8, 2
	v_mov_b32_e32 v9, 1
	s_branch .LBB5_248
.LBB5_247:                              ;   in Loop: Header=BB5_248 Depth=1
	s_or_b64 exec, exec, s[18:19]
	s_sub_u32 s12, s12, s14
	s_subb_u32 s13, s13, s15
	s_add_u32 s2, s2, s14
	s_addc_u32 s3, s3, s15
	s_cmp_lg_u64 s[12:13], 0
	s_cbranch_scc0 .LBB5_330
.LBB5_248:                              ; =>This Loop Header: Depth=1
                                        ;     Child Loop BB5_251 Depth 2
                                        ;     Child Loop BB5_259 Depth 2
                                        ;     Child Loop BB5_267 Depth 2
                                        ;     Child Loop BB5_275 Depth 2
                                        ;     Child Loop BB5_283 Depth 2
                                        ;     Child Loop BB5_291 Depth 2
                                        ;     Child Loop BB5_299 Depth 2
                                        ;     Child Loop BB5_307 Depth 2
                                        ;     Child Loop BB5_315 Depth 2
                                        ;     Child Loop BB5_324 Depth 2
                                        ;     Child Loop BB5_329 Depth 2
	v_cmp_lt_u64_e64 s[0:1], s[12:13], 56
	v_cmp_gt_u64_e64 s[16:17], s[12:13], 7
	s_and_b64 s[0:1], s[0:1], exec
	s_cselect_b32 s15, s13, 0
	s_cselect_b32 s14, s12, 56
	s_add_u32 s0, s2, 8
	s_addc_u32 s1, s3, 0
	s_and_b64 vcc, exec, s[16:17]
	s_cbranch_vccnz .LBB5_252
; %bb.249:                              ;   in Loop: Header=BB5_248 Depth=1
	s_cmp_eq_u64 s[12:13], 0
	s_cbranch_scc1 .LBB5_253
; %bb.250:                              ;   in Loop: Header=BB5_248 Depth=1
	v_mov_b32_e32 v4, 0
	s_lshl_b64 s[0:1], s[14:15], 3
	s_mov_b64 s[16:17], 0
	v_mov_b32_e32 v5, 0
	s_mov_b64 s[18:19], s[2:3]
.LBB5_251:                              ;   Parent Loop BB5_248 Depth=1
                                        ; =>  This Inner Loop Header: Depth=2
	global_load_ubyte v6, v28, s[18:19]
	s_waitcnt vmcnt(0)
	v_and_b32_e32 v27, 0xffff, v6
	v_lshlrev_b64 v[6:7], s16, v[27:28]
	s_add_u32 s16, s16, 8
	s_addc_u32 s17, s17, 0
	s_add_u32 s18, s18, 1
	s_addc_u32 s19, s19, 0
	v_or_b32_e32 v4, v6, v4
	s_cmp_lg_u32 s0, s16
	v_or_b32_e32 v5, v7, v5
	s_cbranch_scc1 .LBB5_251
	s_branch .LBB5_254
.LBB5_252:                              ;   in Loop: Header=BB5_248 Depth=1
	s_mov_b32 s20, 0
	s_branch .LBB5_255
.LBB5_253:                              ;   in Loop: Header=BB5_248 Depth=1
	v_mov_b32_e32 v4, 0
	v_mov_b32_e32 v5, 0
.LBB5_254:                              ;   in Loop: Header=BB5_248 Depth=1
	s_mov_b64 s[0:1], s[2:3]
	s_mov_b32 s20, 0
	s_cbranch_execnz .LBB5_256
.LBB5_255:                              ;   in Loop: Header=BB5_248 Depth=1
	global_load_dwordx2 v[4:5], v28, s[2:3]
	s_add_i32 s20, s14, -8
.LBB5_256:                              ;   in Loop: Header=BB5_248 Depth=1
	s_add_u32 s16, s0, 8
	s_addc_u32 s17, s1, 0
	s_cmp_gt_u32 s20, 7
	s_cbranch_scc1 .LBB5_260
; %bb.257:                              ;   in Loop: Header=BB5_248 Depth=1
	s_cmp_eq_u32 s20, 0
	s_cbranch_scc1 .LBB5_261
; %bb.258:                              ;   in Loop: Header=BB5_248 Depth=1
	v_mov_b32_e32 v10, 0
	s_mov_b64 s[16:17], 0
	v_mov_b32_e32 v11, 0
	s_mov_b64 s[18:19], 0
.LBB5_259:                              ;   Parent Loop BB5_248 Depth=1
                                        ; =>  This Inner Loop Header: Depth=2
	s_add_u32 s22, s0, s18
	s_addc_u32 s23, s1, s19
	global_load_ubyte v6, v28, s[22:23]
	s_add_u32 s18, s18, 1
	s_addc_u32 s19, s19, 0
	s_waitcnt vmcnt(0)
	v_and_b32_e32 v27, 0xffff, v6
	v_lshlrev_b64 v[6:7], s16, v[27:28]
	s_add_u32 s16, s16, 8
	s_addc_u32 s17, s17, 0
	v_or_b32_e32 v10, v6, v10
	s_cmp_lg_u32 s20, s18
	v_or_b32_e32 v11, v7, v11
	s_cbranch_scc1 .LBB5_259
	s_branch .LBB5_262
.LBB5_260:                              ;   in Loop: Header=BB5_248 Depth=1
                                        ; implicit-def: $vgpr10_vgpr11
	s_mov_b32 s21, 0
	s_branch .LBB5_263
.LBB5_261:                              ;   in Loop: Header=BB5_248 Depth=1
	v_mov_b32_e32 v10, 0
	v_mov_b32_e32 v11, 0
.LBB5_262:                              ;   in Loop: Header=BB5_248 Depth=1
	s_mov_b64 s[16:17], s[0:1]
	s_mov_b32 s21, 0
	s_cbranch_execnz .LBB5_264
.LBB5_263:                              ;   in Loop: Header=BB5_248 Depth=1
	global_load_dwordx2 v[10:11], v28, s[0:1]
	s_add_i32 s21, s20, -8
.LBB5_264:                              ;   in Loop: Header=BB5_248 Depth=1
	s_add_u32 s0, s16, 8
	s_addc_u32 s1, s17, 0
	s_cmp_gt_u32 s21, 7
	s_cbranch_scc1 .LBB5_268
; %bb.265:                              ;   in Loop: Header=BB5_248 Depth=1
	s_cmp_eq_u32 s21, 0
	s_cbranch_scc1 .LBB5_269
; %bb.266:                              ;   in Loop: Header=BB5_248 Depth=1
	v_mov_b32_e32 v12, 0
	s_mov_b64 s[0:1], 0
	v_mov_b32_e32 v13, 0
	s_mov_b64 s[18:19], 0
.LBB5_267:                              ;   Parent Loop BB5_248 Depth=1
                                        ; =>  This Inner Loop Header: Depth=2
	s_add_u32 s22, s16, s18
	s_addc_u32 s23, s17, s19
	global_load_ubyte v6, v28, s[22:23]
	s_add_u32 s18, s18, 1
	s_addc_u32 s19, s19, 0
	s_waitcnt vmcnt(0)
	v_and_b32_e32 v27, 0xffff, v6
	v_lshlrev_b64 v[6:7], s0, v[27:28]
	s_add_u32 s0, s0, 8
	s_addc_u32 s1, s1, 0
	v_or_b32_e32 v12, v6, v12
	s_cmp_lg_u32 s21, s18
	v_or_b32_e32 v13, v7, v13
	s_cbranch_scc1 .LBB5_267
	s_branch .LBB5_270
.LBB5_268:                              ;   in Loop: Header=BB5_248 Depth=1
	s_mov_b32 s20, 0
	s_branch .LBB5_271
.LBB5_269:                              ;   in Loop: Header=BB5_248 Depth=1
	v_mov_b32_e32 v12, 0
	v_mov_b32_e32 v13, 0
.LBB5_270:                              ;   in Loop: Header=BB5_248 Depth=1
	s_mov_b64 s[0:1], s[16:17]
	s_mov_b32 s20, 0
	s_cbranch_execnz .LBB5_272
.LBB5_271:                              ;   in Loop: Header=BB5_248 Depth=1
	global_load_dwordx2 v[12:13], v28, s[16:17]
	s_add_i32 s20, s21, -8
.LBB5_272:                              ;   in Loop: Header=BB5_248 Depth=1
	s_add_u32 s16, s0, 8
	s_addc_u32 s17, s1, 0
	s_cmp_gt_u32 s20, 7
	s_cbranch_scc1 .LBB5_276
; %bb.273:                              ;   in Loop: Header=BB5_248 Depth=1
	s_cmp_eq_u32 s20, 0
	s_cbranch_scc1 .LBB5_277
; %bb.274:                              ;   in Loop: Header=BB5_248 Depth=1
	v_mov_b32_e32 v14, 0
	s_mov_b64 s[16:17], 0
	v_mov_b32_e32 v15, 0
	s_mov_b64 s[18:19], 0
.LBB5_275:                              ;   Parent Loop BB5_248 Depth=1
                                        ; =>  This Inner Loop Header: Depth=2
	s_add_u32 s22, s0, s18
	s_addc_u32 s23, s1, s19
	global_load_ubyte v6, v28, s[22:23]
	s_add_u32 s18, s18, 1
	s_addc_u32 s19, s19, 0
	s_waitcnt vmcnt(0)
	v_and_b32_e32 v27, 0xffff, v6
	v_lshlrev_b64 v[6:7], s16, v[27:28]
	s_add_u32 s16, s16, 8
	s_addc_u32 s17, s17, 0
	v_or_b32_e32 v14, v6, v14
	s_cmp_lg_u32 s20, s18
	v_or_b32_e32 v15, v7, v15
	s_cbranch_scc1 .LBB5_275
	s_branch .LBB5_278
.LBB5_276:                              ;   in Loop: Header=BB5_248 Depth=1
                                        ; implicit-def: $vgpr14_vgpr15
	s_mov_b32 s21, 0
	s_branch .LBB5_279
.LBB5_277:                              ;   in Loop: Header=BB5_248 Depth=1
	v_mov_b32_e32 v14, 0
	v_mov_b32_e32 v15, 0
.LBB5_278:                              ;   in Loop: Header=BB5_248 Depth=1
	s_mov_b64 s[16:17], s[0:1]
	s_mov_b32 s21, 0
	s_cbranch_execnz .LBB5_280
.LBB5_279:                              ;   in Loop: Header=BB5_248 Depth=1
	global_load_dwordx2 v[14:15], v28, s[0:1]
	s_add_i32 s21, s20, -8
.LBB5_280:                              ;   in Loop: Header=BB5_248 Depth=1
	s_add_u32 s0, s16, 8
	s_addc_u32 s1, s17, 0
	s_cmp_gt_u32 s21, 7
	s_cbranch_scc1 .LBB5_284
; %bb.281:                              ;   in Loop: Header=BB5_248 Depth=1
	s_cmp_eq_u32 s21, 0
	s_cbranch_scc1 .LBB5_285
; %bb.282:                              ;   in Loop: Header=BB5_248 Depth=1
	v_mov_b32_e32 v16, 0
	s_mov_b64 s[0:1], 0
	v_mov_b32_e32 v17, 0
	s_mov_b64 s[18:19], 0
.LBB5_283:                              ;   Parent Loop BB5_248 Depth=1
                                        ; =>  This Inner Loop Header: Depth=2
	s_add_u32 s22, s16, s18
	s_addc_u32 s23, s17, s19
	global_load_ubyte v6, v28, s[22:23]
	s_add_u32 s18, s18, 1
	s_addc_u32 s19, s19, 0
	s_waitcnt vmcnt(0)
	v_and_b32_e32 v27, 0xffff, v6
	v_lshlrev_b64 v[6:7], s0, v[27:28]
	s_add_u32 s0, s0, 8
	s_addc_u32 s1, s1, 0
	v_or_b32_e32 v16, v6, v16
	s_cmp_lg_u32 s21, s18
	v_or_b32_e32 v17, v7, v17
	s_cbranch_scc1 .LBB5_283
	s_branch .LBB5_286
.LBB5_284:                              ;   in Loop: Header=BB5_248 Depth=1
	s_mov_b32 s20, 0
	s_branch .LBB5_287
.LBB5_285:                              ;   in Loop: Header=BB5_248 Depth=1
	v_mov_b32_e32 v16, 0
	v_mov_b32_e32 v17, 0
.LBB5_286:                              ;   in Loop: Header=BB5_248 Depth=1
	s_mov_b64 s[0:1], s[16:17]
	s_mov_b32 s20, 0
	s_cbranch_execnz .LBB5_288
.LBB5_287:                              ;   in Loop: Header=BB5_248 Depth=1
	global_load_dwordx2 v[16:17], v28, s[16:17]
	s_add_i32 s20, s21, -8
.LBB5_288:                              ;   in Loop: Header=BB5_248 Depth=1
	s_add_u32 s16, s0, 8
	s_addc_u32 s17, s1, 0
	s_cmp_gt_u32 s20, 7
	s_cbranch_scc1 .LBB5_292
; %bb.289:                              ;   in Loop: Header=BB5_248 Depth=1
	s_cmp_eq_u32 s20, 0
	s_cbranch_scc1 .LBB5_293
; %bb.290:                              ;   in Loop: Header=BB5_248 Depth=1
	v_mov_b32_e32 v18, 0
	s_mov_b64 s[16:17], 0
	v_mov_b32_e32 v19, 0
	s_mov_b64 s[18:19], 0
.LBB5_291:                              ;   Parent Loop BB5_248 Depth=1
                                        ; =>  This Inner Loop Header: Depth=2
	s_add_u32 s22, s0, s18
	s_addc_u32 s23, s1, s19
	global_load_ubyte v6, v28, s[22:23]
	s_add_u32 s18, s18, 1
	s_addc_u32 s19, s19, 0
	s_waitcnt vmcnt(0)
	v_and_b32_e32 v27, 0xffff, v6
	v_lshlrev_b64 v[6:7], s16, v[27:28]
	s_add_u32 s16, s16, 8
	s_addc_u32 s17, s17, 0
	v_or_b32_e32 v18, v6, v18
	s_cmp_lg_u32 s20, s18
	v_or_b32_e32 v19, v7, v19
	s_cbranch_scc1 .LBB5_291
	s_branch .LBB5_294
.LBB5_292:                              ;   in Loop: Header=BB5_248 Depth=1
                                        ; implicit-def: $vgpr18_vgpr19
	s_mov_b32 s21, 0
	s_branch .LBB5_295
.LBB5_293:                              ;   in Loop: Header=BB5_248 Depth=1
	v_mov_b32_e32 v18, 0
	v_mov_b32_e32 v19, 0
.LBB5_294:                              ;   in Loop: Header=BB5_248 Depth=1
	s_mov_b64 s[16:17], s[0:1]
	s_mov_b32 s21, 0
	s_cbranch_execnz .LBB5_296
.LBB5_295:                              ;   in Loop: Header=BB5_248 Depth=1
	global_load_dwordx2 v[18:19], v28, s[0:1]
	s_add_i32 s21, s20, -8
.LBB5_296:                              ;   in Loop: Header=BB5_248 Depth=1
	s_cmp_gt_u32 s21, 7
	s_cbranch_scc1 .LBB5_300
; %bb.297:                              ;   in Loop: Header=BB5_248 Depth=1
	s_cmp_eq_u32 s21, 0
	s_cbranch_scc1 .LBB5_301
; %bb.298:                              ;   in Loop: Header=BB5_248 Depth=1
	v_mov_b32_e32 v20, 0
	s_mov_b64 s[0:1], 0
	v_mov_b32_e32 v21, 0
	s_mov_b64 s[18:19], s[16:17]
.LBB5_299:                              ;   Parent Loop BB5_248 Depth=1
                                        ; =>  This Inner Loop Header: Depth=2
	global_load_ubyte v6, v28, s[18:19]
	s_add_i32 s21, s21, -1
	s_waitcnt vmcnt(0)
	v_and_b32_e32 v27, 0xffff, v6
	v_lshlrev_b64 v[6:7], s0, v[27:28]
	s_add_u32 s0, s0, 8
	s_addc_u32 s1, s1, 0
	s_add_u32 s18, s18, 1
	s_addc_u32 s19, s19, 0
	v_or_b32_e32 v20, v6, v20
	s_cmp_lg_u32 s21, 0
	v_or_b32_e32 v21, v7, v21
	s_cbranch_scc1 .LBB5_299
	s_branch .LBB5_302
.LBB5_300:                              ;   in Loop: Header=BB5_248 Depth=1
	s_branch .LBB5_303
.LBB5_301:                              ;   in Loop: Header=BB5_248 Depth=1
	v_mov_b32_e32 v20, 0
	v_mov_b32_e32 v21, 0
.LBB5_302:                              ;   in Loop: Header=BB5_248 Depth=1
	s_cbranch_execnz .LBB5_304
.LBB5_303:                              ;   in Loop: Header=BB5_248 Depth=1
	global_load_dwordx2 v[20:21], v28, s[16:17]
.LBB5_304:                              ;   in Loop: Header=BB5_248 Depth=1
	v_readfirstlane_b32 s0, v33
	v_mov_b32_e32 v6, 0
	v_mov_b32_e32 v7, 0
	v_cmp_eq_u32_e64 s[0:1], s0, v33
	s_and_saveexec_b64 s[16:17], s[0:1]
	s_cbranch_execz .LBB5_310
; %bb.305:                              ;   in Loop: Header=BB5_248 Depth=1
	global_load_dwordx2 v[24:25], v28, s[10:11] offset:24 glc
	s_waitcnt vmcnt(0)
	buffer_wbinvl1_vol
	global_load_dwordx2 v[6:7], v28, s[10:11] offset:40
	global_load_dwordx2 v[22:23], v28, s[10:11]
	s_waitcnt vmcnt(1)
	v_and_b32_e32 v6, v6, v24
	v_and_b32_e32 v7, v7, v25
	v_mul_lo_u32 v7, v7, 24
	v_mul_hi_u32 v27, v6, 24
	v_mul_lo_u32 v6, v6, 24
	v_add_u32_e32 v7, v27, v7
	s_waitcnt vmcnt(0)
	v_add_co_u32_e32 v6, vcc, v22, v6
	v_addc_co_u32_e32 v7, vcc, v23, v7, vcc
	global_load_dwordx2 v[22:23], v[6:7], off glc
	s_waitcnt vmcnt(0)
	global_atomic_cmpswap_x2 v[6:7], v28, v[22:25], s[10:11] offset:24 glc
	s_waitcnt vmcnt(0)
	buffer_wbinvl1_vol
	v_cmp_ne_u64_e32 vcc, v[6:7], v[24:25]
	s_and_saveexec_b64 s[18:19], vcc
	s_cbranch_execz .LBB5_309
; %bb.306:                              ;   in Loop: Header=BB5_248 Depth=1
	s_mov_b64 s[20:21], 0
.LBB5_307:                              ;   Parent Loop BB5_248 Depth=1
                                        ; =>  This Inner Loop Header: Depth=2
	s_sleep 1
	global_load_dwordx2 v[22:23], v28, s[10:11] offset:40
	global_load_dwordx2 v[29:30], v28, s[10:11]
	v_mov_b32_e32 v25, v7
	v_mov_b32_e32 v24, v6
	s_waitcnt vmcnt(1)
	v_and_b32_e32 v6, v22, v24
	s_waitcnt vmcnt(0)
	v_mad_u64_u32 v[6:7], s[22:23], v6, 24, v[29:30]
	v_and_b32_e32 v22, v23, v25
	v_mad_u64_u32 v[22:23], s[22:23], v22, 24, v[7:8]
	v_mov_b32_e32 v7, v22
	global_load_dwordx2 v[22:23], v[6:7], off glc
	s_waitcnt vmcnt(0)
	global_atomic_cmpswap_x2 v[6:7], v28, v[22:25], s[10:11] offset:24 glc
	s_waitcnt vmcnt(0)
	buffer_wbinvl1_vol
	v_cmp_eq_u64_e32 vcc, v[6:7], v[24:25]
	s_or_b64 s[20:21], vcc, s[20:21]
	s_andn2_b64 exec, exec, s[20:21]
	s_cbranch_execnz .LBB5_307
; %bb.308:                              ;   in Loop: Header=BB5_248 Depth=1
	s_or_b64 exec, exec, s[20:21]
.LBB5_309:                              ;   in Loop: Header=BB5_248 Depth=1
	s_or_b64 exec, exec, s[18:19]
.LBB5_310:                              ;   in Loop: Header=BB5_248 Depth=1
	s_or_b64 exec, exec, s[16:17]
	global_load_dwordx2 v[29:30], v28, s[10:11] offset:40
	global_load_dwordx4 v[22:25], v28, s[10:11]
	v_readfirstlane_b32 s17, v7
	v_readfirstlane_b32 s16, v6
	s_mov_b64 s[18:19], exec
	s_waitcnt vmcnt(1)
	v_readfirstlane_b32 s20, v29
	v_readfirstlane_b32 s21, v30
	s_and_b64 s[20:21], s[20:21], s[16:17]
	s_mul_i32 s22, s21, 24
	s_mul_hi_u32 s23, s20, 24
	s_mul_i32 s24, s20, 24
	s_add_i32 s22, s23, s22
	v_mov_b32_e32 v6, s22
	s_waitcnt vmcnt(0)
	v_add_co_u32_e32 v29, vcc, s24, v22
	v_addc_co_u32_e32 v30, vcc, v23, v6, vcc
	s_and_saveexec_b64 s[22:23], s[0:1]
	s_cbranch_execz .LBB5_312
; %bb.311:                              ;   in Loop: Header=BB5_248 Depth=1
	v_mov_b32_e32 v6, s18
	v_mov_b32_e32 v7, s19
	global_store_dwordx4 v[29:30], v[6:9], off offset:8
.LBB5_312:                              ;   in Loop: Header=BB5_248 Depth=1
	s_or_b64 exec, exec, s[22:23]
	s_lshl_b64 s[18:19], s[20:21], 12
	v_mov_b32_e32 v6, s19
	v_add_co_u32_e32 v24, vcc, s18, v24
	v_addc_co_u32_e32 v25, vcc, v25, v6, vcc
	v_cmp_lt_u64_e64 vcc, s[12:13], 57
	s_lshl_b32 s18, s14, 2
	v_cndmask_b32_e32 v6, 0, v34, vcc
	s_add_i32 s18, s18, 28
	v_and_b32_e32 v2, 0xffffff1f, v2
	s_and_b32 s18, s18, 0x1e0
	v_or_b32_e32 v2, v2, v6
	v_or_b32_e32 v2, s18, v2
	v_readfirstlane_b32 s18, v24
	v_readfirstlane_b32 s19, v25
	s_nop 4
	global_store_dwordx4 v32, v[2:5], s[18:19]
	global_store_dwordx4 v32, v[10:13], s[18:19] offset:16
	global_store_dwordx4 v32, v[14:17], s[18:19] offset:32
	;; [unrolled: 1-line block ×3, first 2 shown]
	s_and_saveexec_b64 s[18:19], s[0:1]
	s_cbranch_execz .LBB5_320
; %bb.313:                              ;   in Loop: Header=BB5_248 Depth=1
	global_load_dwordx2 v[12:13], v28, s[10:11] offset:32 glc
	global_load_dwordx2 v[2:3], v28, s[10:11] offset:40
	v_mov_b32_e32 v10, s16
	v_mov_b32_e32 v11, s17
	s_waitcnt vmcnt(0)
	v_readfirstlane_b32 s20, v2
	v_readfirstlane_b32 s21, v3
	s_and_b64 s[20:21], s[20:21], s[16:17]
	s_mul_i32 s21, s21, 24
	s_mul_hi_u32 s22, s20, 24
	s_mul_i32 s20, s20, 24
	s_add_i32 s21, s22, s21
	v_mov_b32_e32 v2, s21
	v_add_co_u32_e32 v6, vcc, s20, v22
	v_addc_co_u32_e32 v7, vcc, v23, v2, vcc
	global_store_dwordx2 v[6:7], v[12:13], off
	s_waitcnt vmcnt(0)
	global_atomic_cmpswap_x2 v[4:5], v28, v[10:13], s[10:11] offset:32 glc
	s_waitcnt vmcnt(0)
	v_cmp_ne_u64_e32 vcc, v[4:5], v[12:13]
	s_and_saveexec_b64 s[20:21], vcc
	s_cbranch_execz .LBB5_316
; %bb.314:                              ;   in Loop: Header=BB5_248 Depth=1
	s_mov_b64 s[22:23], 0
.LBB5_315:                              ;   Parent Loop BB5_248 Depth=1
                                        ; =>  This Inner Loop Header: Depth=2
	s_sleep 1
	global_store_dwordx2 v[6:7], v[4:5], off
	v_mov_b32_e32 v2, s16
	v_mov_b32_e32 v3, s17
	s_waitcnt vmcnt(0)
	global_atomic_cmpswap_x2 v[2:3], v28, v[2:5], s[10:11] offset:32 glc
	s_waitcnt vmcnt(0)
	v_cmp_eq_u64_e32 vcc, v[2:3], v[4:5]
	v_mov_b32_e32 v5, v3
	s_or_b64 s[22:23], vcc, s[22:23]
	v_mov_b32_e32 v4, v2
	s_andn2_b64 exec, exec, s[22:23]
	s_cbranch_execnz .LBB5_315
.LBB5_316:                              ;   in Loop: Header=BB5_248 Depth=1
	s_or_b64 exec, exec, s[20:21]
	global_load_dwordx2 v[2:3], v28, s[10:11] offset:16
	s_mov_b64 s[22:23], exec
	v_mbcnt_lo_u32_b32 v4, s22, 0
	v_mbcnt_hi_u32_b32 v4, s23, v4
	v_cmp_eq_u32_e32 vcc, 0, v4
	s_and_saveexec_b64 s[20:21], vcc
	s_cbranch_execz .LBB5_318
; %bb.317:                              ;   in Loop: Header=BB5_248 Depth=1
	s_bcnt1_i32_b64 s22, s[22:23]
	v_mov_b32_e32 v27, s22
	s_waitcnt vmcnt(0)
	global_atomic_add_x2 v[2:3], v[27:28], off offset:8
.LBB5_318:                              ;   in Loop: Header=BB5_248 Depth=1
	s_or_b64 exec, exec, s[20:21]
	s_waitcnt vmcnt(0)
	global_load_dwordx2 v[4:5], v[2:3], off offset:16
	s_waitcnt vmcnt(0)
	v_cmp_eq_u64_e32 vcc, 0, v[4:5]
	s_cbranch_vccnz .LBB5_320
; %bb.319:                              ;   in Loop: Header=BB5_248 Depth=1
	global_load_dword v27, v[2:3], off offset:24
	s_waitcnt vmcnt(0)
	v_readfirstlane_b32 s20, v27
	s_and_b32 m0, s20, 0xffffff
	global_store_dwordx2 v[4:5], v[27:28], off
	s_sendmsg sendmsg(MSG_INTERRUPT)
.LBB5_320:                              ;   in Loop: Header=BB5_248 Depth=1
	s_or_b64 exec, exec, s[18:19]
	v_add_co_u32_e32 v2, vcc, v24, v32
	v_addc_co_u32_e32 v3, vcc, 0, v25, vcc
	s_branch .LBB5_324
.LBB5_321:                              ;   in Loop: Header=BB5_324 Depth=2
	s_or_b64 exec, exec, s[18:19]
	v_readfirstlane_b32 s18, v4
	s_cmp_eq_u32 s18, 0
	s_cbranch_scc1 .LBB5_323
; %bb.322:                              ;   in Loop: Header=BB5_324 Depth=2
	s_sleep 1
	s_cbranch_execnz .LBB5_324
	s_branch .LBB5_326
.LBB5_323:                              ;   in Loop: Header=BB5_248 Depth=1
	s_branch .LBB5_326
.LBB5_324:                              ;   Parent Loop BB5_248 Depth=1
                                        ; =>  This Inner Loop Header: Depth=2
	v_mov_b32_e32 v4, 1
	s_and_saveexec_b64 s[18:19], s[0:1]
	s_cbranch_execz .LBB5_321
; %bb.325:                              ;   in Loop: Header=BB5_324 Depth=2
	global_load_dword v4, v[29:30], off offset:20 glc
	s_waitcnt vmcnt(0)
	buffer_wbinvl1_vol
	v_and_b32_e32 v4, 1, v4
	s_branch .LBB5_321
.LBB5_326:                              ;   in Loop: Header=BB5_248 Depth=1
	global_load_dwordx2 v[2:3], v[2:3], off
	s_and_saveexec_b64 s[18:19], s[0:1]
	s_cbranch_execz .LBB5_247
; %bb.327:                              ;   in Loop: Header=BB5_248 Depth=1
	global_load_dwordx2 v[4:5], v28, s[10:11] offset:40
	global_load_dwordx2 v[14:15], v28, s[10:11] offset:24 glc
	global_load_dwordx2 v[6:7], v28, s[10:11]
	s_waitcnt vmcnt(2)
	v_readfirstlane_b32 s20, v4
	v_readfirstlane_b32 s21, v5
	s_add_u32 s22, s20, 1
	s_addc_u32 s23, s21, 0
	s_add_u32 s0, s22, s16
	s_addc_u32 s1, s23, s17
	s_cmp_eq_u64 s[0:1], 0
	s_cselect_b32 s1, s23, s1
	s_cselect_b32 s0, s22, s0
	s_and_b64 s[16:17], s[0:1], s[20:21]
	s_mul_i32 s17, s17, 24
	s_mul_hi_u32 s20, s16, 24
	s_mul_i32 s16, s16, 24
	s_add_i32 s17, s20, s17
	v_mov_b32_e32 v4, s17
	s_waitcnt vmcnt(0)
	v_add_co_u32_e32 v10, vcc, s16, v6
	v_addc_co_u32_e32 v11, vcc, v7, v4, vcc
	v_mov_b32_e32 v12, s0
	global_store_dwordx2 v[10:11], v[14:15], off
	v_mov_b32_e32 v13, s1
	s_waitcnt vmcnt(0)
	global_atomic_cmpswap_x2 v[6:7], v28, v[12:15], s[10:11] offset:24 glc
	s_waitcnt vmcnt(0)
	v_cmp_ne_u64_e32 vcc, v[6:7], v[14:15]
	s_and_b64 exec, exec, vcc
	s_cbranch_execz .LBB5_247
; %bb.328:                              ;   in Loop: Header=BB5_248 Depth=1
	s_mov_b64 s[16:17], 0
.LBB5_329:                              ;   Parent Loop BB5_248 Depth=1
                                        ; =>  This Inner Loop Header: Depth=2
	s_sleep 1
	global_store_dwordx2 v[10:11], v[6:7], off
	v_mov_b32_e32 v4, s0
	v_mov_b32_e32 v5, s1
	s_waitcnt vmcnt(0)
	global_atomic_cmpswap_x2 v[4:5], v28, v[4:7], s[10:11] offset:24 glc
	s_waitcnt vmcnt(0)
	v_cmp_eq_u64_e32 vcc, v[4:5], v[6:7]
	v_mov_b32_e32 v7, v5
	s_or_b64 s[16:17], vcc, s[16:17]
	v_mov_b32_e32 v6, v4
	s_andn2_b64 exec, exec, s[16:17]
	s_cbranch_execnz .LBB5_329
	s_branch .LBB5_247
.LBB5_330:
	s_branch .LBB5_358
.LBB5_331:
                                        ; implicit-def: $vgpr2_vgpr3
	s_cbranch_execz .LBB5_358
; %bb.332:
	v_readfirstlane_b32 s0, v33
	v_mov_b32_e32 v8, 0
	v_mov_b32_e32 v9, 0
	v_cmp_eq_u32_e64 s[0:1], s0, v33
	s_and_saveexec_b64 s[2:3], s[0:1]
	s_cbranch_execz .LBB5_338
; %bb.333:
	s_waitcnt vmcnt(0)
	v_mov_b32_e32 v2, 0
	global_load_dwordx2 v[5:6], v2, s[10:11] offset:24 glc
	s_waitcnt vmcnt(0)
	buffer_wbinvl1_vol
	global_load_dwordx2 v[3:4], v2, s[10:11] offset:40
	global_load_dwordx2 v[7:8], v2, s[10:11]
	s_waitcnt vmcnt(1)
	v_and_b32_e32 v3, v3, v5
	v_and_b32_e32 v4, v4, v6
	v_mul_lo_u32 v4, v4, 24
	v_mul_hi_u32 v9, v3, 24
	v_mul_lo_u32 v3, v3, 24
	v_add_u32_e32 v4, v9, v4
	s_waitcnt vmcnt(0)
	v_add_co_u32_e32 v3, vcc, v7, v3
	v_addc_co_u32_e32 v4, vcc, v8, v4, vcc
	global_load_dwordx2 v[3:4], v[3:4], off glc
	s_waitcnt vmcnt(0)
	global_atomic_cmpswap_x2 v[8:9], v2, v[3:6], s[10:11] offset:24 glc
	s_waitcnt vmcnt(0)
	buffer_wbinvl1_vol
	v_cmp_ne_u64_e32 vcc, v[8:9], v[5:6]
	s_and_saveexec_b64 s[12:13], vcc
	s_cbranch_execz .LBB5_337
; %bb.334:
	s_mov_b64 s[14:15], 0
.LBB5_335:                              ; =>This Inner Loop Header: Depth=1
	s_sleep 1
	global_load_dwordx2 v[3:4], v2, s[10:11] offset:40
	global_load_dwordx2 v[10:11], v2, s[10:11]
	v_mov_b32_e32 v5, v8
	v_mov_b32_e32 v6, v9
	s_waitcnt vmcnt(1)
	v_and_b32_e32 v3, v3, v5
	s_waitcnt vmcnt(0)
	v_mad_u64_u32 v[7:8], s[16:17], v3, 24, v[10:11]
	v_and_b32_e32 v4, v4, v6
	v_mov_b32_e32 v3, v8
	v_mad_u64_u32 v[3:4], s[16:17], v4, 24, v[3:4]
	v_mov_b32_e32 v8, v3
	global_load_dwordx2 v[3:4], v[7:8], off glc
	s_waitcnt vmcnt(0)
	global_atomic_cmpswap_x2 v[8:9], v2, v[3:6], s[10:11] offset:24 glc
	s_waitcnt vmcnt(0)
	buffer_wbinvl1_vol
	v_cmp_eq_u64_e32 vcc, v[8:9], v[5:6]
	s_or_b64 s[14:15], vcc, s[14:15]
	s_andn2_b64 exec, exec, s[14:15]
	s_cbranch_execnz .LBB5_335
; %bb.336:
	s_or_b64 exec, exec, s[14:15]
.LBB5_337:
	s_or_b64 exec, exec, s[12:13]
.LBB5_338:
	s_or_b64 exec, exec, s[2:3]
	s_waitcnt vmcnt(0)
	v_mov_b32_e32 v2, 0
	global_load_dwordx2 v[10:11], v2, s[10:11] offset:40
	global_load_dwordx4 v[4:7], v2, s[10:11]
	v_readfirstlane_b32 s3, v9
	v_readfirstlane_b32 s2, v8
	s_mov_b64 s[12:13], exec
	s_waitcnt vmcnt(1)
	v_readfirstlane_b32 s14, v10
	v_readfirstlane_b32 s15, v11
	s_and_b64 s[14:15], s[14:15], s[2:3]
	s_mul_i32 s16, s15, 24
	s_mul_hi_u32 s17, s14, 24
	s_mul_i32 s18, s14, 24
	s_add_i32 s16, s17, s16
	v_mov_b32_e32 v3, s16
	s_waitcnt vmcnt(0)
	v_add_co_u32_e32 v8, vcc, s18, v4
	v_addc_co_u32_e32 v9, vcc, v5, v3, vcc
	s_and_saveexec_b64 s[16:17], s[0:1]
	s_cbranch_execz .LBB5_340
; %bb.339:
	v_mov_b32_e32 v10, s12
	v_mov_b32_e32 v11, s13
	;; [unrolled: 1-line block ×4, first 2 shown]
	global_store_dwordx4 v[8:9], v[10:13], off offset:8
.LBB5_340:
	s_or_b64 exec, exec, s[16:17]
	s_lshl_b64 s[12:13], s[14:15], 12
	v_mov_b32_e32 v3, s13
	v_add_co_u32_e32 v10, vcc, s12, v6
	v_addc_co_u32_e32 v11, vcc, v7, v3, vcc
	s_movk_i32 s12, 0xff1f
	v_and_or_b32 v0, v0, s12, 32
	s_mov_b32 s12, 0
	v_mov_b32_e32 v3, v2
	v_readfirstlane_b32 s16, v10
	v_readfirstlane_b32 s17, v11
	v_add_co_u32_e32 v6, vcc, v10, v32
	s_mov_b32 s13, s12
	s_mov_b32 s14, s12
	;; [unrolled: 1-line block ×3, first 2 shown]
	s_nop 0
	global_store_dwordx4 v32, v[0:3], s[16:17]
	v_addc_co_u32_e32 v7, vcc, 0, v11, vcc
	v_mov_b32_e32 v0, s12
	v_mov_b32_e32 v1, s13
	;; [unrolled: 1-line block ×4, first 2 shown]
	global_store_dwordx4 v32, v[0:3], s[16:17] offset:16
	global_store_dwordx4 v32, v[0:3], s[16:17] offset:32
	;; [unrolled: 1-line block ×3, first 2 shown]
	s_and_saveexec_b64 s[12:13], s[0:1]
	s_cbranch_execz .LBB5_348
; %bb.341:
	v_mov_b32_e32 v10, 0
	global_load_dwordx2 v[13:14], v10, s[10:11] offset:32 glc
	global_load_dwordx2 v[0:1], v10, s[10:11] offset:40
	v_mov_b32_e32 v11, s2
	v_mov_b32_e32 v12, s3
	s_waitcnt vmcnt(0)
	v_readfirstlane_b32 s14, v0
	v_readfirstlane_b32 s15, v1
	s_and_b64 s[14:15], s[14:15], s[2:3]
	s_mul_i32 s15, s15, 24
	s_mul_hi_u32 s16, s14, 24
	s_mul_i32 s14, s14, 24
	s_add_i32 s15, s16, s15
	v_mov_b32_e32 v0, s15
	v_add_co_u32_e32 v4, vcc, s14, v4
	v_addc_co_u32_e32 v5, vcc, v5, v0, vcc
	global_store_dwordx2 v[4:5], v[13:14], off
	s_waitcnt vmcnt(0)
	global_atomic_cmpswap_x2 v[2:3], v10, v[11:14], s[10:11] offset:32 glc
	s_waitcnt vmcnt(0)
	v_cmp_ne_u64_e32 vcc, v[2:3], v[13:14]
	s_and_saveexec_b64 s[14:15], vcc
	s_cbranch_execz .LBB5_344
; %bb.342:
	s_mov_b64 s[16:17], 0
.LBB5_343:                              ; =>This Inner Loop Header: Depth=1
	s_sleep 1
	global_store_dwordx2 v[4:5], v[2:3], off
	v_mov_b32_e32 v0, s2
	v_mov_b32_e32 v1, s3
	s_waitcnt vmcnt(0)
	global_atomic_cmpswap_x2 v[0:1], v10, v[0:3], s[10:11] offset:32 glc
	s_waitcnt vmcnt(0)
	v_cmp_eq_u64_e32 vcc, v[0:1], v[2:3]
	v_mov_b32_e32 v3, v1
	s_or_b64 s[16:17], vcc, s[16:17]
	v_mov_b32_e32 v2, v0
	s_andn2_b64 exec, exec, s[16:17]
	s_cbranch_execnz .LBB5_343
.LBB5_344:
	s_or_b64 exec, exec, s[14:15]
	v_mov_b32_e32 v3, 0
	global_load_dwordx2 v[0:1], v3, s[10:11] offset:16
	s_mov_b64 s[14:15], exec
	v_mbcnt_lo_u32_b32 v2, s14, 0
	v_mbcnt_hi_u32_b32 v2, s15, v2
	v_cmp_eq_u32_e32 vcc, 0, v2
	s_and_saveexec_b64 s[16:17], vcc
	s_cbranch_execz .LBB5_346
; %bb.345:
	s_bcnt1_i32_b64 s14, s[14:15]
	v_mov_b32_e32 v2, s14
	s_waitcnt vmcnt(0)
	global_atomic_add_x2 v[0:1], v[2:3], off offset:8
.LBB5_346:
	s_or_b64 exec, exec, s[16:17]
	s_waitcnt vmcnt(0)
	global_load_dwordx2 v[2:3], v[0:1], off offset:16
	s_waitcnt vmcnt(0)
	v_cmp_eq_u64_e32 vcc, 0, v[2:3]
	s_cbranch_vccnz .LBB5_348
; %bb.347:
	global_load_dword v0, v[0:1], off offset:24
	v_mov_b32_e32 v1, 0
	s_waitcnt vmcnt(0)
	v_readfirstlane_b32 s14, v0
	s_and_b32 m0, s14, 0xffffff
	global_store_dwordx2 v[2:3], v[0:1], off
	s_sendmsg sendmsg(MSG_INTERRUPT)
.LBB5_348:
	s_or_b64 exec, exec, s[12:13]
	s_branch .LBB5_352
.LBB5_349:                              ;   in Loop: Header=BB5_352 Depth=1
	s_or_b64 exec, exec, s[12:13]
	v_readfirstlane_b32 s12, v0
	s_cmp_eq_u32 s12, 0
	s_cbranch_scc1 .LBB5_351
; %bb.350:                              ;   in Loop: Header=BB5_352 Depth=1
	s_sleep 1
	s_cbranch_execnz .LBB5_352
	s_branch .LBB5_354
.LBB5_351:
	s_branch .LBB5_354
.LBB5_352:                              ; =>This Inner Loop Header: Depth=1
	v_mov_b32_e32 v0, 1
	s_and_saveexec_b64 s[12:13], s[0:1]
	s_cbranch_execz .LBB5_349
; %bb.353:                              ;   in Loop: Header=BB5_352 Depth=1
	global_load_dword v0, v[8:9], off offset:20 glc
	s_waitcnt vmcnt(0)
	buffer_wbinvl1_vol
	v_and_b32_e32 v0, 1, v0
	s_branch .LBB5_349
.LBB5_354:
	global_load_dwordx2 v[2:3], v[6:7], off
	s_and_saveexec_b64 s[12:13], s[0:1]
	s_cbranch_execz .LBB5_357
; %bb.355:
	v_mov_b32_e32 v8, 0
	global_load_dwordx2 v[0:1], v8, s[10:11] offset:40
	global_load_dwordx2 v[11:12], v8, s[10:11] offset:24 glc
	global_load_dwordx2 v[4:5], v8, s[10:11]
	s_waitcnt vmcnt(2)
	v_readfirstlane_b32 s14, v0
	v_readfirstlane_b32 s15, v1
	s_add_u32 s16, s14, 1
	s_addc_u32 s17, s15, 0
	s_add_u32 s0, s16, s2
	s_addc_u32 s1, s17, s3
	s_cmp_eq_u64 s[0:1], 0
	s_cselect_b32 s1, s17, s1
	s_cselect_b32 s0, s16, s0
	s_and_b64 s[2:3], s[0:1], s[14:15]
	s_mul_i32 s3, s3, 24
	s_mul_hi_u32 s14, s2, 24
	s_mul_i32 s2, s2, 24
	s_add_i32 s3, s14, s3
	v_mov_b32_e32 v1, s3
	s_waitcnt vmcnt(0)
	v_add_co_u32_e32 v0, vcc, s2, v4
	v_addc_co_u32_e32 v1, vcc, v5, v1, vcc
	v_mov_b32_e32 v9, s0
	global_store_dwordx2 v[0:1], v[11:12], off
	v_mov_b32_e32 v10, s1
	s_waitcnt vmcnt(0)
	global_atomic_cmpswap_x2 v[6:7], v8, v[9:12], s[10:11] offset:24 glc
	s_mov_b64 s[2:3], 0
	s_waitcnt vmcnt(0)
	v_cmp_ne_u64_e32 vcc, v[6:7], v[11:12]
	s_and_b64 exec, exec, vcc
	s_cbranch_execz .LBB5_357
.LBB5_356:                              ; =>This Inner Loop Header: Depth=1
	s_sleep 1
	global_store_dwordx2 v[0:1], v[6:7], off
	v_mov_b32_e32 v4, s0
	v_mov_b32_e32 v5, s1
	s_waitcnt vmcnt(0)
	global_atomic_cmpswap_x2 v[4:5], v8, v[4:7], s[10:11] offset:24 glc
	s_waitcnt vmcnt(0)
	v_cmp_eq_u64_e32 vcc, v[4:5], v[6:7]
	v_mov_b32_e32 v7, v5
	s_or_b64 s[2:3], vcc, s[2:3]
	v_mov_b32_e32 v6, v4
	s_andn2_b64 exec, exec, s[2:3]
	s_cbranch_execnz .LBB5_356
.LBB5_357:
	s_or_b64 exec, exec, s[12:13]
.LBB5_358:
	v_readfirstlane_b32 s0, v33
	s_waitcnt vmcnt(0)
	v_mov_b32_e32 v0, 0
	v_mov_b32_e32 v1, 0
	v_cmp_eq_u32_e64 s[0:1], s0, v33
	s_and_saveexec_b64 s[2:3], s[0:1]
	s_cbranch_execz .LBB5_364
; %bb.359:
	v_mov_b32_e32 v4, 0
	global_load_dwordx2 v[7:8], v4, s[10:11] offset:24 glc
	s_waitcnt vmcnt(0)
	buffer_wbinvl1_vol
	global_load_dwordx2 v[0:1], v4, s[10:11] offset:40
	global_load_dwordx2 v[5:6], v4, s[10:11]
	s_waitcnt vmcnt(1)
	v_and_b32_e32 v0, v0, v7
	v_and_b32_e32 v1, v1, v8
	v_mul_lo_u32 v1, v1, 24
	v_mul_hi_u32 v9, v0, 24
	v_mul_lo_u32 v0, v0, 24
	v_add_u32_e32 v1, v9, v1
	s_waitcnt vmcnt(0)
	v_add_co_u32_e32 v0, vcc, v5, v0
	v_addc_co_u32_e32 v1, vcc, v6, v1, vcc
	global_load_dwordx2 v[5:6], v[0:1], off glc
	s_waitcnt vmcnt(0)
	global_atomic_cmpswap_x2 v[0:1], v4, v[5:8], s[10:11] offset:24 glc
	s_waitcnt vmcnt(0)
	buffer_wbinvl1_vol
	v_cmp_ne_u64_e32 vcc, v[0:1], v[7:8]
	s_and_saveexec_b64 s[12:13], vcc
	s_cbranch_execz .LBB5_363
; %bb.360:
	s_mov_b64 s[14:15], 0
.LBB5_361:                              ; =>This Inner Loop Header: Depth=1
	s_sleep 1
	global_load_dwordx2 v[5:6], v4, s[10:11] offset:40
	global_load_dwordx2 v[9:10], v4, s[10:11]
	v_mov_b32_e32 v8, v1
	v_mov_b32_e32 v7, v0
	s_waitcnt vmcnt(1)
	v_and_b32_e32 v0, v5, v7
	s_waitcnt vmcnt(0)
	v_mad_u64_u32 v[0:1], s[16:17], v0, 24, v[9:10]
	v_and_b32_e32 v5, v6, v8
	v_mad_u64_u32 v[5:6], s[16:17], v5, 24, v[1:2]
	v_mov_b32_e32 v1, v5
	global_load_dwordx2 v[5:6], v[0:1], off glc
	s_waitcnt vmcnt(0)
	global_atomic_cmpswap_x2 v[0:1], v4, v[5:8], s[10:11] offset:24 glc
	s_waitcnt vmcnt(0)
	buffer_wbinvl1_vol
	v_cmp_eq_u64_e32 vcc, v[0:1], v[7:8]
	s_or_b64 s[14:15], vcc, s[14:15]
	s_andn2_b64 exec, exec, s[14:15]
	s_cbranch_execnz .LBB5_361
; %bb.362:
	s_or_b64 exec, exec, s[14:15]
.LBB5_363:
	s_or_b64 exec, exec, s[12:13]
.LBB5_364:
	s_or_b64 exec, exec, s[2:3]
	v_mov_b32_e32 v5, 0
	global_load_dwordx2 v[10:11], v5, s[10:11] offset:40
	global_load_dwordx4 v[6:9], v5, s[10:11]
	v_readfirstlane_b32 s3, v1
	v_readfirstlane_b32 s2, v0
	s_mov_b64 s[12:13], exec
	s_waitcnt vmcnt(1)
	v_readfirstlane_b32 s14, v10
	v_readfirstlane_b32 s15, v11
	s_and_b64 s[14:15], s[14:15], s[2:3]
	s_mul_i32 s16, s15, 24
	s_mul_hi_u32 s17, s14, 24
	s_mul_i32 s18, s14, 24
	s_add_i32 s16, s17, s16
	v_mov_b32_e32 v0, s16
	s_waitcnt vmcnt(0)
	v_add_co_u32_e32 v10, vcc, s18, v6
	v_addc_co_u32_e32 v11, vcc, v7, v0, vcc
	s_and_saveexec_b64 s[16:17], s[0:1]
	s_cbranch_execz .LBB5_366
; %bb.365:
	v_mov_b32_e32 v12, s12
	v_mov_b32_e32 v13, s13
	;; [unrolled: 1-line block ×4, first 2 shown]
	global_store_dwordx4 v[10:11], v[12:15], off offset:8
.LBB5_366:
	s_or_b64 exec, exec, s[16:17]
	s_lshl_b64 s[12:13], s[14:15], 12
	v_mov_b32_e32 v0, s13
	v_add_co_u32_e32 v1, vcc, s12, v8
	v_addc_co_u32_e32 v0, vcc, v9, v0, vcc
	s_lshr_b32 s13, s26, 4
	s_movk_i32 s14, 0xff1f
	s_mov_b32 s12, 0
	v_and_or_b32 v2, v2, s14, 32
	v_add_co_u32_e32 v8, vcc, v1, v32
	v_mov_b32_e32 v4, s13
	v_readfirstlane_b32 s16, v1
	v_readfirstlane_b32 s17, v0
	v_addc_co_u32_e32 v9, vcc, 0, v0, vcc
	s_mov_b32 s13, s12
	s_mov_b32 s14, s12
	;; [unrolled: 1-line block ×3, first 2 shown]
	s_nop 0
	global_store_dwordx4 v32, v[2:5], s[16:17]
	v_mov_b32_e32 v0, s12
	v_mov_b32_e32 v1, s13
	;; [unrolled: 1-line block ×4, first 2 shown]
	global_store_dwordx4 v32, v[0:3], s[16:17] offset:16
	global_store_dwordx4 v32, v[0:3], s[16:17] offset:32
	;; [unrolled: 1-line block ×3, first 2 shown]
	s_and_saveexec_b64 s[12:13], s[0:1]
	s_cbranch_execz .LBB5_374
; %bb.367:
	v_mov_b32_e32 v12, 0
	global_load_dwordx2 v[15:16], v12, s[10:11] offset:32 glc
	global_load_dwordx2 v[0:1], v12, s[10:11] offset:40
	v_mov_b32_e32 v13, s2
	v_mov_b32_e32 v14, s3
	s_waitcnt vmcnt(0)
	v_readfirstlane_b32 s14, v0
	v_readfirstlane_b32 s15, v1
	s_and_b64 s[14:15], s[14:15], s[2:3]
	s_mul_i32 s15, s15, 24
	s_mul_hi_u32 s16, s14, 24
	s_mul_i32 s14, s14, 24
	s_add_i32 s15, s16, s15
	v_mov_b32_e32 v0, s15
	v_add_co_u32_e32 v4, vcc, s14, v6
	v_addc_co_u32_e32 v5, vcc, v7, v0, vcc
	global_store_dwordx2 v[4:5], v[15:16], off
	s_waitcnt vmcnt(0)
	global_atomic_cmpswap_x2 v[2:3], v12, v[13:16], s[10:11] offset:32 glc
	s_waitcnt vmcnt(0)
	v_cmp_ne_u64_e32 vcc, v[2:3], v[15:16]
	s_and_saveexec_b64 s[14:15], vcc
	s_cbranch_execz .LBB5_370
; %bb.368:
	s_mov_b64 s[16:17], 0
.LBB5_369:                              ; =>This Inner Loop Header: Depth=1
	s_sleep 1
	global_store_dwordx2 v[4:5], v[2:3], off
	v_mov_b32_e32 v0, s2
	v_mov_b32_e32 v1, s3
	s_waitcnt vmcnt(0)
	global_atomic_cmpswap_x2 v[0:1], v12, v[0:3], s[10:11] offset:32 glc
	s_waitcnt vmcnt(0)
	v_cmp_eq_u64_e32 vcc, v[0:1], v[2:3]
	v_mov_b32_e32 v3, v1
	s_or_b64 s[16:17], vcc, s[16:17]
	v_mov_b32_e32 v2, v0
	s_andn2_b64 exec, exec, s[16:17]
	s_cbranch_execnz .LBB5_369
.LBB5_370:
	s_or_b64 exec, exec, s[14:15]
	v_mov_b32_e32 v3, 0
	global_load_dwordx2 v[0:1], v3, s[10:11] offset:16
	s_mov_b64 s[14:15], exec
	v_mbcnt_lo_u32_b32 v2, s14, 0
	v_mbcnt_hi_u32_b32 v2, s15, v2
	v_cmp_eq_u32_e32 vcc, 0, v2
	s_and_saveexec_b64 s[16:17], vcc
	s_cbranch_execz .LBB5_372
; %bb.371:
	s_bcnt1_i32_b64 s14, s[14:15]
	v_mov_b32_e32 v2, s14
	s_waitcnt vmcnt(0)
	global_atomic_add_x2 v[0:1], v[2:3], off offset:8
.LBB5_372:
	s_or_b64 exec, exec, s[16:17]
	s_waitcnt vmcnt(0)
	global_load_dwordx2 v[2:3], v[0:1], off offset:16
	s_waitcnt vmcnt(0)
	v_cmp_eq_u64_e32 vcc, 0, v[2:3]
	s_cbranch_vccnz .LBB5_374
; %bb.373:
	global_load_dword v0, v[0:1], off offset:24
	v_mov_b32_e32 v1, 0
	s_waitcnt vmcnt(0)
	v_readfirstlane_b32 s14, v0
	s_and_b32 m0, s14, 0xffffff
	global_store_dwordx2 v[2:3], v[0:1], off
	s_sendmsg sendmsg(MSG_INTERRUPT)
.LBB5_374:
	s_or_b64 exec, exec, s[12:13]
	s_branch .LBB5_378
.LBB5_375:                              ;   in Loop: Header=BB5_378 Depth=1
	s_or_b64 exec, exec, s[12:13]
	v_readfirstlane_b32 s12, v0
	s_cmp_eq_u32 s12, 0
	s_cbranch_scc1 .LBB5_377
; %bb.376:                              ;   in Loop: Header=BB5_378 Depth=1
	s_sleep 1
	s_cbranch_execnz .LBB5_378
	s_branch .LBB5_380
.LBB5_377:
	s_branch .LBB5_380
.LBB5_378:                              ; =>This Inner Loop Header: Depth=1
	v_mov_b32_e32 v0, 1
	s_and_saveexec_b64 s[12:13], s[0:1]
	s_cbranch_execz .LBB5_375
; %bb.379:                              ;   in Loop: Header=BB5_378 Depth=1
	global_load_dword v0, v[10:11], off offset:20 glc
	s_waitcnt vmcnt(0)
	buffer_wbinvl1_vol
	v_and_b32_e32 v0, 1, v0
	s_branch .LBB5_375
.LBB5_380:
	global_load_dwordx2 v[0:1], v[8:9], off
	s_and_saveexec_b64 s[12:13], s[0:1]
	s_cbranch_execz .LBB5_383
; %bb.381:
	v_mov_b32_e32 v8, 0
	global_load_dwordx2 v[2:3], v8, s[10:11] offset:40
	global_load_dwordx2 v[11:12], v8, s[10:11] offset:24 glc
	global_load_dwordx2 v[4:5], v8, s[10:11]
	s_waitcnt vmcnt(2)
	v_readfirstlane_b32 s14, v2
	v_readfirstlane_b32 s15, v3
	s_add_u32 s16, s14, 1
	s_addc_u32 s17, s15, 0
	s_add_u32 s0, s16, s2
	s_addc_u32 s1, s17, s3
	s_cmp_eq_u64 s[0:1], 0
	s_cselect_b32 s1, s17, s1
	s_cselect_b32 s0, s16, s0
	s_and_b64 s[2:3], s[0:1], s[14:15]
	s_mul_i32 s3, s3, 24
	s_mul_hi_u32 s14, s2, 24
	s_mul_i32 s2, s2, 24
	s_add_i32 s3, s14, s3
	v_mov_b32_e32 v2, s3
	s_waitcnt vmcnt(0)
	v_add_co_u32_e32 v6, vcc, s2, v4
	v_addc_co_u32_e32 v7, vcc, v5, v2, vcc
	v_mov_b32_e32 v9, s0
	global_store_dwordx2 v[6:7], v[11:12], off
	v_mov_b32_e32 v10, s1
	s_waitcnt vmcnt(0)
	global_atomic_cmpswap_x2 v[4:5], v8, v[9:12], s[10:11] offset:24 glc
	s_mov_b64 s[2:3], 0
	s_waitcnt vmcnt(0)
	v_cmp_ne_u64_e32 vcc, v[4:5], v[11:12]
	s_and_b64 exec, exec, vcc
	s_cbranch_execz .LBB5_383
.LBB5_382:                              ; =>This Inner Loop Header: Depth=1
	s_sleep 1
	global_store_dwordx2 v[6:7], v[4:5], off
	v_mov_b32_e32 v2, s0
	v_mov_b32_e32 v3, s1
	s_waitcnt vmcnt(0)
	global_atomic_cmpswap_x2 v[2:3], v8, v[2:5], s[10:11] offset:24 glc
	s_waitcnt vmcnt(0)
	v_cmp_eq_u64_e32 vcc, v[2:3], v[4:5]
	v_mov_b32_e32 v5, v3
	s_or_b64 s[2:3], vcc, s[2:3]
	v_mov_b32_e32 v4, v2
	s_andn2_b64 exec, exec, s[2:3]
	s_cbranch_execnz .LBB5_382
.LBB5_383:
	s_or_b64 exec, exec, s[12:13]
	v_readfirstlane_b32 s0, v33
	v_mov_b32_e32 v8, 0
	v_mov_b32_e32 v9, 0
	v_cmp_eq_u32_e64 s[0:1], s0, v33
	s_and_saveexec_b64 s[2:3], s[0:1]
	s_cbranch_execz .LBB5_389
; %bb.384:
	v_mov_b32_e32 v2, 0
	global_load_dwordx2 v[5:6], v2, s[10:11] offset:24 glc
	s_waitcnt vmcnt(0)
	buffer_wbinvl1_vol
	global_load_dwordx2 v[3:4], v2, s[10:11] offset:40
	global_load_dwordx2 v[7:8], v2, s[10:11]
	s_waitcnt vmcnt(1)
	v_and_b32_e32 v3, v3, v5
	v_and_b32_e32 v4, v4, v6
	v_mul_lo_u32 v4, v4, 24
	v_mul_hi_u32 v9, v3, 24
	v_mul_lo_u32 v3, v3, 24
	v_add_u32_e32 v4, v9, v4
	s_waitcnt vmcnt(0)
	v_add_co_u32_e32 v3, vcc, v7, v3
	v_addc_co_u32_e32 v4, vcc, v8, v4, vcc
	global_load_dwordx2 v[3:4], v[3:4], off glc
	s_waitcnt vmcnt(0)
	global_atomic_cmpswap_x2 v[8:9], v2, v[3:6], s[10:11] offset:24 glc
	s_waitcnt vmcnt(0)
	buffer_wbinvl1_vol
	v_cmp_ne_u64_e32 vcc, v[8:9], v[5:6]
	s_and_saveexec_b64 s[12:13], vcc
	s_cbranch_execz .LBB5_388
; %bb.385:
	s_mov_b64 s[14:15], 0
.LBB5_386:                              ; =>This Inner Loop Header: Depth=1
	s_sleep 1
	global_load_dwordx2 v[3:4], v2, s[10:11] offset:40
	global_load_dwordx2 v[10:11], v2, s[10:11]
	v_mov_b32_e32 v5, v8
	v_mov_b32_e32 v6, v9
	s_waitcnt vmcnt(1)
	v_and_b32_e32 v3, v3, v5
	s_waitcnt vmcnt(0)
	v_mad_u64_u32 v[7:8], s[16:17], v3, 24, v[10:11]
	v_and_b32_e32 v4, v4, v6
	v_mov_b32_e32 v3, v8
	v_mad_u64_u32 v[3:4], s[16:17], v4, 24, v[3:4]
	v_mov_b32_e32 v8, v3
	global_load_dwordx2 v[3:4], v[7:8], off glc
	s_waitcnt vmcnt(0)
	global_atomic_cmpswap_x2 v[8:9], v2, v[3:6], s[10:11] offset:24 glc
	s_waitcnt vmcnt(0)
	buffer_wbinvl1_vol
	v_cmp_eq_u64_e32 vcc, v[8:9], v[5:6]
	s_or_b64 s[14:15], vcc, s[14:15]
	s_andn2_b64 exec, exec, s[14:15]
	s_cbranch_execnz .LBB5_386
; %bb.387:
	s_or_b64 exec, exec, s[14:15]
.LBB5_388:
	s_or_b64 exec, exec, s[12:13]
.LBB5_389:
	s_or_b64 exec, exec, s[2:3]
	v_mov_b32_e32 v3, 0
	global_load_dwordx2 v[10:11], v3, s[10:11] offset:40
	global_load_dwordx4 v[4:7], v3, s[10:11]
	v_readfirstlane_b32 s3, v9
	v_readfirstlane_b32 s2, v8
	s_mov_b64 s[12:13], exec
	s_waitcnt vmcnt(1)
	v_readfirstlane_b32 s14, v10
	v_readfirstlane_b32 s15, v11
	s_and_b64 s[14:15], s[14:15], s[2:3]
	s_mul_i32 s16, s15, 24
	s_mul_hi_u32 s17, s14, 24
	s_mul_i32 s18, s14, 24
	s_add_i32 s16, s17, s16
	v_mov_b32_e32 v2, s16
	s_waitcnt vmcnt(0)
	v_add_co_u32_e32 v8, vcc, s18, v4
	v_addc_co_u32_e32 v9, vcc, v5, v2, vcc
	s_and_saveexec_b64 s[16:17], s[0:1]
	s_cbranch_execz .LBB5_391
; %bb.390:
	v_mov_b32_e32 v10, s12
	v_mov_b32_e32 v11, s13
	;; [unrolled: 1-line block ×4, first 2 shown]
	global_store_dwordx4 v[8:9], v[10:13], off offset:8
.LBB5_391:
	s_or_b64 exec, exec, s[16:17]
	s_lshl_b64 s[12:13], s[14:15], 12
	v_mov_b32_e32 v2, s13
	v_add_co_u32_e32 v6, vcc, s12, v6
	v_addc_co_u32_e32 v7, vcc, v7, v2, vcc
	s_movk_i32 s12, 0xff1d
	v_and_or_b32 v0, v0, s12, 34
	s_mov_b32 s12, 0
	v_mov_b32_e32 v2, 16
	v_readfirstlane_b32 s16, v6
	v_readfirstlane_b32 s17, v7
	s_mov_b32 s13, s12
	s_mov_b32 s14, s12
	;; [unrolled: 1-line block ×3, first 2 shown]
	s_nop 1
	global_store_dwordx4 v32, v[0:3], s[16:17]
	s_nop 0
	v_mov_b32_e32 v0, s12
	v_mov_b32_e32 v1, s13
	;; [unrolled: 1-line block ×4, first 2 shown]
	global_store_dwordx4 v32, v[0:3], s[16:17] offset:16
	global_store_dwordx4 v32, v[0:3], s[16:17] offset:32
	;; [unrolled: 1-line block ×3, first 2 shown]
	s_and_saveexec_b64 s[12:13], s[0:1]
	s_cbranch_execz .LBB5_399
; %bb.392:
	v_mov_b32_e32 v6, 0
	global_load_dwordx2 v[12:13], v6, s[10:11] offset:32 glc
	global_load_dwordx2 v[0:1], v6, s[10:11] offset:40
	v_mov_b32_e32 v10, s2
	v_mov_b32_e32 v11, s3
	s_waitcnt vmcnt(0)
	v_readfirstlane_b32 s14, v0
	v_readfirstlane_b32 s15, v1
	s_and_b64 s[14:15], s[14:15], s[2:3]
	s_mul_i32 s15, s15, 24
	s_mul_hi_u32 s16, s14, 24
	s_mul_i32 s14, s14, 24
	s_add_i32 s15, s16, s15
	v_mov_b32_e32 v0, s15
	v_add_co_u32_e32 v4, vcc, s14, v4
	v_addc_co_u32_e32 v5, vcc, v5, v0, vcc
	global_store_dwordx2 v[4:5], v[12:13], off
	s_waitcnt vmcnt(0)
	global_atomic_cmpswap_x2 v[2:3], v6, v[10:13], s[10:11] offset:32 glc
	s_waitcnt vmcnt(0)
	v_cmp_ne_u64_e32 vcc, v[2:3], v[12:13]
	s_and_saveexec_b64 s[14:15], vcc
	s_cbranch_execz .LBB5_395
; %bb.393:
	s_mov_b64 s[16:17], 0
.LBB5_394:                              ; =>This Inner Loop Header: Depth=1
	s_sleep 1
	global_store_dwordx2 v[4:5], v[2:3], off
	v_mov_b32_e32 v0, s2
	v_mov_b32_e32 v1, s3
	s_waitcnt vmcnt(0)
	global_atomic_cmpswap_x2 v[0:1], v6, v[0:3], s[10:11] offset:32 glc
	s_waitcnt vmcnt(0)
	v_cmp_eq_u64_e32 vcc, v[0:1], v[2:3]
	v_mov_b32_e32 v3, v1
	s_or_b64 s[16:17], vcc, s[16:17]
	v_mov_b32_e32 v2, v0
	s_andn2_b64 exec, exec, s[16:17]
	s_cbranch_execnz .LBB5_394
.LBB5_395:
	s_or_b64 exec, exec, s[14:15]
	v_mov_b32_e32 v3, 0
	global_load_dwordx2 v[0:1], v3, s[10:11] offset:16
	s_mov_b64 s[14:15], exec
	v_mbcnt_lo_u32_b32 v2, s14, 0
	v_mbcnt_hi_u32_b32 v2, s15, v2
	v_cmp_eq_u32_e32 vcc, 0, v2
	s_and_saveexec_b64 s[16:17], vcc
	s_cbranch_execz .LBB5_397
; %bb.396:
	s_bcnt1_i32_b64 s14, s[14:15]
	v_mov_b32_e32 v2, s14
	s_waitcnt vmcnt(0)
	global_atomic_add_x2 v[0:1], v[2:3], off offset:8
.LBB5_397:
	s_or_b64 exec, exec, s[16:17]
	s_waitcnt vmcnt(0)
	global_load_dwordx2 v[2:3], v[0:1], off offset:16
	s_waitcnt vmcnt(0)
	v_cmp_eq_u64_e32 vcc, 0, v[2:3]
	s_cbranch_vccnz .LBB5_399
; %bb.398:
	global_load_dword v0, v[0:1], off offset:24
	v_mov_b32_e32 v1, 0
	s_waitcnt vmcnt(0)
	v_readfirstlane_b32 s14, v0
	s_and_b32 m0, s14, 0xffffff
	global_store_dwordx2 v[2:3], v[0:1], off
	s_sendmsg sendmsg(MSG_INTERRUPT)
.LBB5_399:
	s_or_b64 exec, exec, s[12:13]
	s_branch .LBB5_403
.LBB5_400:                              ;   in Loop: Header=BB5_403 Depth=1
	s_or_b64 exec, exec, s[12:13]
	v_readfirstlane_b32 s12, v0
	s_cmp_eq_u32 s12, 0
	s_cbranch_scc1 .LBB5_402
; %bb.401:                              ;   in Loop: Header=BB5_403 Depth=1
	s_sleep 1
	s_cbranch_execnz .LBB5_403
	s_branch .LBB5_405
.LBB5_402:
	s_branch .LBB5_405
.LBB5_403:                              ; =>This Inner Loop Header: Depth=1
	v_mov_b32_e32 v0, 1
	s_and_saveexec_b64 s[12:13], s[0:1]
	s_cbranch_execz .LBB5_400
; %bb.404:                              ;   in Loop: Header=BB5_403 Depth=1
	global_load_dword v0, v[8:9], off offset:20 glc
	s_waitcnt vmcnt(0)
	buffer_wbinvl1_vol
	v_and_b32_e32 v0, 1, v0
	s_branch .LBB5_400
.LBB5_405:
	s_and_b64 exec, exec, s[0:1]
	s_cbranch_execz .LBB5_408
; %bb.406:
	v_mov_b32_e32 v6, 0
	global_load_dwordx2 v[0:1], v6, s[10:11] offset:40
	global_load_dwordx2 v[9:10], v6, s[10:11] offset:24 glc
	global_load_dwordx2 v[2:3], v6, s[10:11]
	s_waitcnt vmcnt(2)
	v_readfirstlane_b32 s12, v0
	v_readfirstlane_b32 s13, v1
	s_add_u32 s14, s12, 1
	s_addc_u32 s15, s13, 0
	s_add_u32 s0, s14, s2
	s_addc_u32 s1, s15, s3
	s_cmp_eq_u64 s[0:1], 0
	s_cselect_b32 s1, s15, s1
	s_cselect_b32 s0, s14, s0
	s_and_b64 s[2:3], s[0:1], s[12:13]
	s_mul_i32 s3, s3, 24
	s_mul_hi_u32 s12, s2, 24
	s_mul_i32 s2, s2, 24
	s_add_i32 s3, s12, s3
	v_mov_b32_e32 v0, s3
	s_waitcnt vmcnt(0)
	v_add_co_u32_e32 v4, vcc, s2, v2
	v_addc_co_u32_e32 v5, vcc, v3, v0, vcc
	v_mov_b32_e32 v7, s0
	global_store_dwordx2 v[4:5], v[9:10], off
	v_mov_b32_e32 v8, s1
	s_waitcnt vmcnt(0)
	global_atomic_cmpswap_x2 v[2:3], v6, v[7:10], s[10:11] offset:24 glc
	s_mov_b64 s[2:3], 0
	s_waitcnt vmcnt(0)
	v_cmp_ne_u64_e32 vcc, v[2:3], v[9:10]
	s_and_b64 exec, exec, vcc
	s_cbranch_execz .LBB5_408
.LBB5_407:                              ; =>This Inner Loop Header: Depth=1
	s_sleep 1
	global_store_dwordx2 v[4:5], v[2:3], off
	v_mov_b32_e32 v0, s0
	v_mov_b32_e32 v1, s1
	s_waitcnt vmcnt(0)
	global_atomic_cmpswap_x2 v[0:1], v6, v[0:3], s[10:11] offset:24 glc
	s_waitcnt vmcnt(0)
	v_cmp_eq_u64_e32 vcc, v[0:1], v[2:3]
	v_mov_b32_e32 v3, v1
	s_or_b64 s[2:3], vcc, s[2:3]
	v_mov_b32_e32 v2, v0
	s_andn2_b64 exec, exec, s[2:3]
	s_cbranch_execnz .LBB5_407
.LBB5_408:
	s_or_b64 exec, exec, s[8:9]
	v_and_b32_e32 v0, -16, v26
	v_ashrrev_i32_e32 v1, 31, v0
	v_lshlrev_b64 v[0:1], 2, v[0:1]
	v_mov_b32_e32 v2, s27
	v_add_co_u32_e32 v0, vcc, s28, v0
	v_and_b32_e32 v4, 15, v26
	v_addc_co_u32_e32 v1, vcc, v2, v1, vcc
	v_lshlrev_b32_e32 v2, 2, v4
	v_add_co_u32_e32 v2, vcc, v0, v2
	v_addc_co_u32_e32 v3, vcc, 0, v1, vcc
	v_cmp_gt_u32_e32 vcc, 8, v4
	s_waitcnt vmcnt(0) lgkmcnt(0)
	s_barrier
	flat_store_dword v[2:3], v26
	s_waitcnt vmcnt(0) lgkmcnt(0)
	buffer_wbinvl1_vol
	s_and_saveexec_b64 s[0:1], vcc
	s_cbranch_execz .LBB5_410
; %bb.409:
	flat_load_dword v5, v[2:3] offset:32
	s_waitcnt vmcnt(0) lgkmcnt(0)
	v_add_u32_e32 v31, v5, v26
.LBB5_410:
	s_or_b64 exec, exec, s[0:1]
	v_cmp_gt_u32_e32 vcc, 4, v4
	buffer_wbinvl1_vol
	flat_store_dword v[2:3], v31
	s_waitcnt vmcnt(0) lgkmcnt(0)
	buffer_wbinvl1_vol
	s_and_saveexec_b64 s[0:1], vcc
	s_cbranch_execz .LBB5_412
; %bb.411:
	flat_load_dword v5, v[2:3] offset:16
	s_waitcnt vmcnt(0) lgkmcnt(0)
	v_add_u32_e32 v31, v5, v31
.LBB5_412:
	s_or_b64 exec, exec, s[0:1]
	v_cmp_gt_u32_e32 vcc, 2, v4
	buffer_wbinvl1_vol
	flat_store_dword v[2:3], v31
	s_waitcnt vmcnt(0) lgkmcnt(0)
	buffer_wbinvl1_vol
	s_and_saveexec_b64 s[0:1], vcc
	s_cbranch_execz .LBB5_414
; %bb.413:
	flat_load_dword v5, v[2:3] offset:8
	s_waitcnt vmcnt(0) lgkmcnt(0)
	v_add_u32_e32 v31, v5, v31
.LBB5_414:
	s_or_b64 exec, exec, s[0:1]
	v_cmp_eq_u32_e64 s[0:1], 0, v4
	buffer_wbinvl1_vol
	flat_store_dword v[2:3], v31
	s_waitcnt vmcnt(0) lgkmcnt(0)
	buffer_wbinvl1_vol
	s_and_saveexec_b64 s[2:3], s[0:1]
	s_cbranch_execnz .LBB5_417
; %bb.415:
	s_or_b64 exec, exec, s[2:3]
	buffer_wbinvl1_vol
	s_and_saveexec_b64 s[2:3], s[0:1]
	s_cbranch_execnz .LBB5_418
.LBB5_416:
	s_endpgm
.LBB5_417:
	flat_load_dword v0, v[0:1] offset:4
	s_waitcnt vmcnt(0) lgkmcnt(0)
	v_add_u32_e32 v31, v0, v31
	s_or_b64 exec, exec, s[2:3]
	buffer_wbinvl1_vol
	s_and_saveexec_b64 s[2:3], s[0:1]
	s_cbranch_execz .LBB5_416
.LBB5_418:
	s_load_dwordx2 s[6:7], s[6:7], 0x50
	v_mbcnt_lo_u32_b32 v0, -1, 0
	v_mbcnt_hi_u32_b32 v33, -1, v0
	v_readfirstlane_b32 s2, v33
	v_mov_b32_e32 v5, 0
	v_mov_b32_e32 v6, 0
	v_cmp_eq_u32_e64 s[2:3], s2, v33
	s_and_saveexec_b64 s[8:9], s[2:3]
	s_cbranch_execz .LBB5_424
; %bb.419:
	v_mov_b32_e32 v0, 0
	s_waitcnt lgkmcnt(0)
	global_load_dwordx2 v[3:4], v0, s[6:7] offset:24 glc
	s_waitcnt vmcnt(0)
	buffer_wbinvl1_vol
	global_load_dwordx2 v[1:2], v0, s[6:7] offset:40
	global_load_dwordx2 v[5:6], v0, s[6:7]
	s_waitcnt vmcnt(1)
	v_and_b32_e32 v1, v1, v3
	v_and_b32_e32 v2, v2, v4
	v_mul_lo_u32 v2, v2, 24
	v_mul_hi_u32 v7, v1, 24
	v_mul_lo_u32 v1, v1, 24
	v_add_u32_e32 v2, v7, v2
	s_waitcnt vmcnt(0)
	v_add_co_u32_e32 v1, vcc, v5, v1
	v_addc_co_u32_e32 v2, vcc, v6, v2, vcc
	global_load_dwordx2 v[1:2], v[1:2], off glc
	s_waitcnt vmcnt(0)
	global_atomic_cmpswap_x2 v[5:6], v0, v[1:4], s[6:7] offset:24 glc
	s_waitcnt vmcnt(0)
	buffer_wbinvl1_vol
	v_cmp_ne_u64_e32 vcc, v[5:6], v[3:4]
	s_and_saveexec_b64 s[10:11], vcc
	s_cbranch_execz .LBB5_423
; %bb.420:
	s_mov_b64 s[12:13], 0
.LBB5_421:                              ; =>This Inner Loop Header: Depth=1
	s_sleep 1
	global_load_dwordx2 v[1:2], v0, s[6:7] offset:40
	global_load_dwordx2 v[7:8], v0, s[6:7]
	v_mov_b32_e32 v3, v5
	v_mov_b32_e32 v4, v6
	s_waitcnt vmcnt(1)
	v_and_b32_e32 v1, v1, v3
	s_waitcnt vmcnt(0)
	v_mad_u64_u32 v[5:6], s[14:15], v1, 24, v[7:8]
	v_and_b32_e32 v2, v2, v4
	v_mov_b32_e32 v1, v6
	v_mad_u64_u32 v[1:2], s[14:15], v2, 24, v[1:2]
	v_mov_b32_e32 v6, v1
	global_load_dwordx2 v[1:2], v[5:6], off glc
	s_waitcnt vmcnt(0)
	global_atomic_cmpswap_x2 v[5:6], v0, v[1:4], s[6:7] offset:24 glc
	s_waitcnt vmcnt(0)
	buffer_wbinvl1_vol
	v_cmp_eq_u64_e32 vcc, v[5:6], v[3:4]
	s_or_b64 s[12:13], vcc, s[12:13]
	s_andn2_b64 exec, exec, s[12:13]
	s_cbranch_execnz .LBB5_421
; %bb.422:
	s_or_b64 exec, exec, s[12:13]
.LBB5_423:
	s_or_b64 exec, exec, s[10:11]
.LBB5_424:
	s_or_b64 exec, exec, s[8:9]
	v_mov_b32_e32 v4, 0
	s_waitcnt lgkmcnt(0)
	global_load_dwordx2 v[7:8], v4, s[6:7] offset:40
	global_load_dwordx4 v[0:3], v4, s[6:7]
	v_readfirstlane_b32 s9, v6
	v_readfirstlane_b32 s8, v5
	s_mov_b64 s[10:11], exec
	s_waitcnt vmcnt(1)
	v_readfirstlane_b32 s12, v7
	v_readfirstlane_b32 s13, v8
	s_and_b64 s[12:13], s[12:13], s[8:9]
	s_mul_i32 s14, s13, 24
	s_mul_hi_u32 s15, s12, 24
	s_mul_i32 s16, s12, 24
	s_add_i32 s14, s15, s14
	v_mov_b32_e32 v5, s14
	s_waitcnt vmcnt(0)
	v_add_co_u32_e32 v7, vcc, s16, v0
	v_addc_co_u32_e32 v8, vcc, v1, v5, vcc
	s_and_saveexec_b64 s[14:15], s[2:3]
	s_cbranch_execz .LBB5_426
; %bb.425:
	v_mov_b32_e32 v9, s10
	v_mov_b32_e32 v10, s11
	;; [unrolled: 1-line block ×4, first 2 shown]
	global_store_dwordx4 v[7:8], v[9:12], off offset:8
.LBB5_426:
	s_or_b64 exec, exec, s[14:15]
	s_lshl_b64 s[10:11], s[12:13], 12
	v_mov_b32_e32 v5, s11
	v_add_co_u32_e32 v2, vcc, s10, v2
	v_addc_co_u32_e32 v11, vcc, v3, v5, vcc
	v_lshlrev_b32_e32 v32, 6, v33
	s_mov_b32 s12, 0
	v_mov_b32_e32 v3, 33
	v_mov_b32_e32 v5, v4
	v_mov_b32_e32 v6, v4
	v_readfirstlane_b32 s10, v2
	v_readfirstlane_b32 s11, v11
	v_add_co_u32_e32 v9, vcc, v2, v32
	s_mov_b32 s13, s12
	s_mov_b32 s14, s12
	;; [unrolled: 1-line block ×3, first 2 shown]
	s_nop 0
	global_store_dwordx4 v32, v[3:6], s[10:11]
	v_mov_b32_e32 v2, s12
	v_addc_co_u32_e32 v10, vcc, 0, v11, vcc
	v_mov_b32_e32 v3, s13
	v_mov_b32_e32 v4, s14
	;; [unrolled: 1-line block ×3, first 2 shown]
	global_store_dwordx4 v32, v[2:5], s[10:11] offset:16
	global_store_dwordx4 v32, v[2:5], s[10:11] offset:32
	;; [unrolled: 1-line block ×3, first 2 shown]
	s_and_saveexec_b64 s[10:11], s[2:3]
	s_cbranch_execz .LBB5_434
; %bb.427:
	v_mov_b32_e32 v6, 0
	global_load_dwordx2 v[13:14], v6, s[6:7] offset:32 glc
	global_load_dwordx2 v[2:3], v6, s[6:7] offset:40
	v_mov_b32_e32 v11, s8
	v_mov_b32_e32 v12, s9
	s_waitcnt vmcnt(0)
	v_and_b32_e32 v2, s8, v2
	v_and_b32_e32 v3, s9, v3
	v_mul_lo_u32 v3, v3, 24
	v_mul_hi_u32 v4, v2, 24
	v_mul_lo_u32 v2, v2, 24
	v_add_u32_e32 v3, v4, v3
	v_add_co_u32_e32 v4, vcc, v0, v2
	v_addc_co_u32_e32 v5, vcc, v1, v3, vcc
	global_store_dwordx2 v[4:5], v[13:14], off
	s_waitcnt vmcnt(0)
	global_atomic_cmpswap_x2 v[2:3], v6, v[11:14], s[6:7] offset:32 glc
	s_waitcnt vmcnt(0)
	v_cmp_ne_u64_e32 vcc, v[2:3], v[13:14]
	s_and_saveexec_b64 s[12:13], vcc
	s_cbranch_execz .LBB5_430
; %bb.428:
	s_mov_b64 s[14:15], 0
.LBB5_429:                              ; =>This Inner Loop Header: Depth=1
	s_sleep 1
	global_store_dwordx2 v[4:5], v[2:3], off
	v_mov_b32_e32 v0, s8
	v_mov_b32_e32 v1, s9
	s_waitcnt vmcnt(0)
	global_atomic_cmpswap_x2 v[0:1], v6, v[0:3], s[6:7] offset:32 glc
	s_waitcnt vmcnt(0)
	v_cmp_eq_u64_e32 vcc, v[0:1], v[2:3]
	v_mov_b32_e32 v3, v1
	s_or_b64 s[14:15], vcc, s[14:15]
	v_mov_b32_e32 v2, v0
	s_andn2_b64 exec, exec, s[14:15]
	s_cbranch_execnz .LBB5_429
.LBB5_430:
	s_or_b64 exec, exec, s[12:13]
	v_mov_b32_e32 v3, 0
	global_load_dwordx2 v[0:1], v3, s[6:7] offset:16
	s_mov_b64 s[12:13], exec
	v_mbcnt_lo_u32_b32 v2, s12, 0
	v_mbcnt_hi_u32_b32 v2, s13, v2
	v_cmp_eq_u32_e32 vcc, 0, v2
	s_and_saveexec_b64 s[14:15], vcc
	s_cbranch_execz .LBB5_432
; %bb.431:
	s_bcnt1_i32_b64 s12, s[12:13]
	v_mov_b32_e32 v2, s12
	s_waitcnt vmcnt(0)
	global_atomic_add_x2 v[0:1], v[2:3], off offset:8
.LBB5_432:
	s_or_b64 exec, exec, s[14:15]
	s_waitcnt vmcnt(0)
	global_load_dwordx2 v[2:3], v[0:1], off offset:16
	s_waitcnt vmcnt(0)
	v_cmp_eq_u64_e32 vcc, 0, v[2:3]
	s_cbranch_vccnz .LBB5_434
; %bb.433:
	global_load_dword v0, v[0:1], off offset:24
	v_mov_b32_e32 v1, 0
	s_waitcnt vmcnt(0)
	v_readfirstlane_b32 s12, v0
	s_and_b32 m0, s12, 0xffffff
	global_store_dwordx2 v[2:3], v[0:1], off
	s_sendmsg sendmsg(MSG_INTERRUPT)
.LBB5_434:
	s_or_b64 exec, exec, s[10:11]
	s_branch .LBB5_438
.LBB5_435:                              ;   in Loop: Header=BB5_438 Depth=1
	s_or_b64 exec, exec, s[10:11]
	v_readfirstlane_b32 s10, v0
	s_cmp_eq_u32 s10, 0
	s_cbranch_scc1 .LBB5_437
; %bb.436:                              ;   in Loop: Header=BB5_438 Depth=1
	s_sleep 1
	s_cbranch_execnz .LBB5_438
	s_branch .LBB5_440
.LBB5_437:
	s_branch .LBB5_440
.LBB5_438:                              ; =>This Inner Loop Header: Depth=1
	v_mov_b32_e32 v0, 1
	s_and_saveexec_b64 s[10:11], s[2:3]
	s_cbranch_execz .LBB5_435
; %bb.439:                              ;   in Loop: Header=BB5_438 Depth=1
	global_load_dword v0, v[7:8], off offset:20 glc
	s_waitcnt vmcnt(0)
	buffer_wbinvl1_vol
	v_and_b32_e32 v0, 1, v0
	s_branch .LBB5_435
.LBB5_440:
	global_load_dwordx2 v[0:1], v[9:10], off
	s_and_saveexec_b64 s[10:11], s[2:3]
	s_cbranch_execz .LBB5_443
; %bb.441:
	v_mov_b32_e32 v8, 0
	global_load_dwordx2 v[2:3], v8, s[6:7] offset:40
	global_load_dwordx2 v[11:12], v8, s[6:7] offset:24 glc
	global_load_dwordx2 v[4:5], v8, s[6:7]
	s_waitcnt vmcnt(2)
	v_readfirstlane_b32 s12, v2
	v_readfirstlane_b32 s13, v3
	s_add_u32 s14, s12, 1
	s_addc_u32 s15, s13, 0
	s_add_u32 s2, s14, s8
	s_addc_u32 s3, s15, s9
	s_cmp_eq_u64 s[2:3], 0
	s_cselect_b32 s3, s15, s3
	s_cselect_b32 s2, s14, s2
	s_and_b64 s[8:9], s[2:3], s[12:13]
	s_mul_i32 s9, s9, 24
	s_mul_hi_u32 s12, s8, 24
	s_mul_i32 s8, s8, 24
	s_add_i32 s9, s12, s9
	v_mov_b32_e32 v2, s9
	s_waitcnt vmcnt(0)
	v_add_co_u32_e32 v6, vcc, s8, v4
	v_addc_co_u32_e32 v7, vcc, v5, v2, vcc
	v_mov_b32_e32 v9, s2
	global_store_dwordx2 v[6:7], v[11:12], off
	v_mov_b32_e32 v10, s3
	s_waitcnt vmcnt(0)
	global_atomic_cmpswap_x2 v[4:5], v8, v[9:12], s[6:7] offset:24 glc
	s_mov_b64 s[8:9], 0
	s_waitcnt vmcnt(0)
	v_cmp_ne_u64_e32 vcc, v[4:5], v[11:12]
	s_and_b64 exec, exec, vcc
	s_cbranch_execz .LBB5_443
.LBB5_442:                              ; =>This Inner Loop Header: Depth=1
	s_sleep 1
	global_store_dwordx2 v[6:7], v[4:5], off
	v_mov_b32_e32 v2, s2
	v_mov_b32_e32 v3, s3
	s_waitcnt vmcnt(0)
	global_atomic_cmpswap_x2 v[2:3], v8, v[2:5], s[6:7] offset:24 glc
	s_waitcnt vmcnt(0)
	v_cmp_eq_u64_e32 vcc, v[2:3], v[4:5]
	v_mov_b32_e32 v5, v3
	s_or_b64 s[8:9], vcc, s[8:9]
	v_mov_b32_e32 v4, v2
	s_andn2_b64 exec, exec, s[8:9]
	s_cbranch_execnz .LBB5_442
.LBB5_443:
	s_or_b64 exec, exec, s[10:11]
	s_getpc_b64 s[8:9]
	s_add_u32 s8, s8, .str.9@rel32@lo+4
	s_addc_u32 s9, s9, .str.9@rel32@hi+12
	s_cmp_lg_u64 s[8:9], 0
	s_cselect_b64 s[2:3], -1, 0
	s_cmp_eq_u64 s[8:9], 0
	s_mov_b64 s[8:9], 0
	s_cbranch_scc1 .LBB5_447
; %bb.444:
	v_mov_b32_e32 v2, 0
	s_getpc_b64 s[8:9]
	s_add_u32 s8, s8, .str.9@rel32@lo+3
	s_addc_u32 s9, s9, .str.9@rel32@hi+11
.LBB5_445:                              ; =>This Inner Loop Header: Depth=1
	global_load_ubyte v3, v2, s[8:9] offset:1
	s_add_u32 s10, s8, 1
	s_addc_u32 s11, s9, 0
	s_mov_b64 s[8:9], s[10:11]
	s_waitcnt vmcnt(0)
	v_cmp_ne_u32_e32 vcc, 0, v3
	s_cbranch_vccnz .LBB5_445
; %bb.446:
	s_getpc_b64 s[8:9]
	s_add_u32 s8, s8, .str.9@rel32@lo+4
	s_addc_u32 s9, s9, .str.9@rel32@hi+12
	s_sub_u32 s8, s10, s8
	s_subb_u32 s9, s11, s9
	s_add_u32 s8, s8, 1
	s_addc_u32 s9, s9, 0
.LBB5_447:
	s_and_b64 vcc, exec, s[2:3]
	s_cbranch_vccz .LBB5_533
; %bb.448:
	s_waitcnt vmcnt(0)
	v_and_b32_e32 v34, 2, v0
	v_mov_b32_e32 v28, 0
	v_and_b32_e32 v2, -3, v0
	v_mov_b32_e32 v3, v1
	v_mov_b32_e32 v8, 2
	;; [unrolled: 1-line block ×3, first 2 shown]
	s_getpc_b64 s[10:11]
	s_add_u32 s10, s10, .str.9@rel32@lo+4
	s_addc_u32 s11, s11, .str.9@rel32@hi+12
	s_branch .LBB5_450
.LBB5_449:                              ;   in Loop: Header=BB5_450 Depth=1
	s_or_b64 exec, exec, s[16:17]
	s_sub_u32 s8, s8, s12
	s_subb_u32 s9, s9, s13
	s_add_u32 s10, s10, s12
	s_addc_u32 s11, s11, s13
	s_cmp_lg_u64 s[8:9], 0
	s_cbranch_scc0 .LBB5_532
.LBB5_450:                              ; =>This Loop Header: Depth=1
                                        ;     Child Loop BB5_453 Depth 2
                                        ;     Child Loop BB5_461 Depth 2
	;; [unrolled: 1-line block ×11, first 2 shown]
	v_cmp_lt_u64_e64 s[2:3], s[8:9], 56
	v_cmp_gt_u64_e64 s[14:15], s[8:9], 7
	s_and_b64 s[2:3], s[2:3], exec
	s_cselect_b32 s13, s9, 0
	s_cselect_b32 s12, s8, 56
	s_add_u32 s2, s10, 8
	s_addc_u32 s3, s11, 0
	s_and_b64 vcc, exec, s[14:15]
	s_cbranch_vccnz .LBB5_454
; %bb.451:                              ;   in Loop: Header=BB5_450 Depth=1
	s_cmp_eq_u64 s[8:9], 0
	s_cbranch_scc1 .LBB5_455
; %bb.452:                              ;   in Loop: Header=BB5_450 Depth=1
	v_mov_b32_e32 v4, 0
	s_lshl_b64 s[2:3], s[12:13], 3
	s_mov_b64 s[14:15], 0
	v_mov_b32_e32 v5, 0
	s_mov_b64 s[16:17], s[10:11]
.LBB5_453:                              ;   Parent Loop BB5_450 Depth=1
                                        ; =>  This Inner Loop Header: Depth=2
	global_load_ubyte v6, v28, s[16:17]
	s_waitcnt vmcnt(0)
	v_and_b32_e32 v27, 0xffff, v6
	v_lshlrev_b64 v[6:7], s14, v[27:28]
	s_add_u32 s14, s14, 8
	s_addc_u32 s15, s15, 0
	s_add_u32 s16, s16, 1
	s_addc_u32 s17, s17, 0
	v_or_b32_e32 v4, v6, v4
	s_cmp_lg_u32 s2, s14
	v_or_b32_e32 v5, v7, v5
	s_cbranch_scc1 .LBB5_453
	s_branch .LBB5_456
.LBB5_454:                              ;   in Loop: Header=BB5_450 Depth=1
	s_mov_b32 s18, 0
	s_branch .LBB5_457
.LBB5_455:                              ;   in Loop: Header=BB5_450 Depth=1
	v_mov_b32_e32 v4, 0
	v_mov_b32_e32 v5, 0
.LBB5_456:                              ;   in Loop: Header=BB5_450 Depth=1
	s_mov_b64 s[2:3], s[10:11]
	s_mov_b32 s18, 0
	s_cbranch_execnz .LBB5_458
.LBB5_457:                              ;   in Loop: Header=BB5_450 Depth=1
	global_load_dwordx2 v[4:5], v28, s[10:11]
	s_add_i32 s18, s12, -8
.LBB5_458:                              ;   in Loop: Header=BB5_450 Depth=1
	s_add_u32 s14, s2, 8
	s_addc_u32 s15, s3, 0
	s_cmp_gt_u32 s18, 7
	s_cbranch_scc1 .LBB5_462
; %bb.459:                              ;   in Loop: Header=BB5_450 Depth=1
	s_cmp_eq_u32 s18, 0
	s_cbranch_scc1 .LBB5_463
; %bb.460:                              ;   in Loop: Header=BB5_450 Depth=1
	v_mov_b32_e32 v10, 0
	s_mov_b64 s[14:15], 0
	v_mov_b32_e32 v11, 0
	s_mov_b64 s[16:17], 0
.LBB5_461:                              ;   Parent Loop BB5_450 Depth=1
                                        ; =>  This Inner Loop Header: Depth=2
	s_add_u32 s20, s2, s16
	s_addc_u32 s21, s3, s17
	global_load_ubyte v6, v28, s[20:21]
	s_add_u32 s16, s16, 1
	s_addc_u32 s17, s17, 0
	s_waitcnt vmcnt(0)
	v_and_b32_e32 v27, 0xffff, v6
	v_lshlrev_b64 v[6:7], s14, v[27:28]
	s_add_u32 s14, s14, 8
	s_addc_u32 s15, s15, 0
	v_or_b32_e32 v10, v6, v10
	s_cmp_lg_u32 s18, s16
	v_or_b32_e32 v11, v7, v11
	s_cbranch_scc1 .LBB5_461
	s_branch .LBB5_464
.LBB5_462:                              ;   in Loop: Header=BB5_450 Depth=1
                                        ; implicit-def: $vgpr10_vgpr11
	s_mov_b32 s19, 0
	s_branch .LBB5_465
.LBB5_463:                              ;   in Loop: Header=BB5_450 Depth=1
	v_mov_b32_e32 v10, 0
	v_mov_b32_e32 v11, 0
.LBB5_464:                              ;   in Loop: Header=BB5_450 Depth=1
	s_mov_b64 s[14:15], s[2:3]
	s_mov_b32 s19, 0
	s_cbranch_execnz .LBB5_466
.LBB5_465:                              ;   in Loop: Header=BB5_450 Depth=1
	global_load_dwordx2 v[10:11], v28, s[2:3]
	s_add_i32 s19, s18, -8
.LBB5_466:                              ;   in Loop: Header=BB5_450 Depth=1
	s_add_u32 s2, s14, 8
	s_addc_u32 s3, s15, 0
	s_cmp_gt_u32 s19, 7
	s_cbranch_scc1 .LBB5_470
; %bb.467:                              ;   in Loop: Header=BB5_450 Depth=1
	s_cmp_eq_u32 s19, 0
	s_cbranch_scc1 .LBB5_471
; %bb.468:                              ;   in Loop: Header=BB5_450 Depth=1
	v_mov_b32_e32 v12, 0
	s_mov_b64 s[2:3], 0
	v_mov_b32_e32 v13, 0
	s_mov_b64 s[16:17], 0
.LBB5_469:                              ;   Parent Loop BB5_450 Depth=1
                                        ; =>  This Inner Loop Header: Depth=2
	s_add_u32 s20, s14, s16
	s_addc_u32 s21, s15, s17
	global_load_ubyte v6, v28, s[20:21]
	s_add_u32 s16, s16, 1
	s_addc_u32 s17, s17, 0
	s_waitcnt vmcnt(0)
	v_and_b32_e32 v27, 0xffff, v6
	v_lshlrev_b64 v[6:7], s2, v[27:28]
	s_add_u32 s2, s2, 8
	s_addc_u32 s3, s3, 0
	v_or_b32_e32 v12, v6, v12
	s_cmp_lg_u32 s19, s16
	v_or_b32_e32 v13, v7, v13
	s_cbranch_scc1 .LBB5_469
	s_branch .LBB5_472
.LBB5_470:                              ;   in Loop: Header=BB5_450 Depth=1
	s_mov_b32 s18, 0
	s_branch .LBB5_473
.LBB5_471:                              ;   in Loop: Header=BB5_450 Depth=1
	v_mov_b32_e32 v12, 0
	v_mov_b32_e32 v13, 0
.LBB5_472:                              ;   in Loop: Header=BB5_450 Depth=1
	s_mov_b64 s[2:3], s[14:15]
	s_mov_b32 s18, 0
	s_cbranch_execnz .LBB5_474
.LBB5_473:                              ;   in Loop: Header=BB5_450 Depth=1
	global_load_dwordx2 v[12:13], v28, s[14:15]
	s_add_i32 s18, s19, -8
.LBB5_474:                              ;   in Loop: Header=BB5_450 Depth=1
	s_add_u32 s14, s2, 8
	s_addc_u32 s15, s3, 0
	s_cmp_gt_u32 s18, 7
	s_cbranch_scc1 .LBB5_478
; %bb.475:                              ;   in Loop: Header=BB5_450 Depth=1
	s_cmp_eq_u32 s18, 0
	s_cbranch_scc1 .LBB5_479
; %bb.476:                              ;   in Loop: Header=BB5_450 Depth=1
	v_mov_b32_e32 v14, 0
	s_mov_b64 s[14:15], 0
	v_mov_b32_e32 v15, 0
	s_mov_b64 s[16:17], 0
.LBB5_477:                              ;   Parent Loop BB5_450 Depth=1
                                        ; =>  This Inner Loop Header: Depth=2
	s_add_u32 s20, s2, s16
	s_addc_u32 s21, s3, s17
	global_load_ubyte v6, v28, s[20:21]
	s_add_u32 s16, s16, 1
	s_addc_u32 s17, s17, 0
	s_waitcnt vmcnt(0)
	v_and_b32_e32 v27, 0xffff, v6
	v_lshlrev_b64 v[6:7], s14, v[27:28]
	s_add_u32 s14, s14, 8
	s_addc_u32 s15, s15, 0
	v_or_b32_e32 v14, v6, v14
	s_cmp_lg_u32 s18, s16
	v_or_b32_e32 v15, v7, v15
	s_cbranch_scc1 .LBB5_477
	s_branch .LBB5_480
.LBB5_478:                              ;   in Loop: Header=BB5_450 Depth=1
                                        ; implicit-def: $vgpr14_vgpr15
	s_mov_b32 s19, 0
	s_branch .LBB5_481
.LBB5_479:                              ;   in Loop: Header=BB5_450 Depth=1
	v_mov_b32_e32 v14, 0
	v_mov_b32_e32 v15, 0
.LBB5_480:                              ;   in Loop: Header=BB5_450 Depth=1
	s_mov_b64 s[14:15], s[2:3]
	s_mov_b32 s19, 0
	s_cbranch_execnz .LBB5_482
.LBB5_481:                              ;   in Loop: Header=BB5_450 Depth=1
	global_load_dwordx2 v[14:15], v28, s[2:3]
	s_add_i32 s19, s18, -8
.LBB5_482:                              ;   in Loop: Header=BB5_450 Depth=1
	s_add_u32 s2, s14, 8
	s_addc_u32 s3, s15, 0
	s_cmp_gt_u32 s19, 7
	s_cbranch_scc1 .LBB5_486
; %bb.483:                              ;   in Loop: Header=BB5_450 Depth=1
	s_cmp_eq_u32 s19, 0
	s_cbranch_scc1 .LBB5_487
; %bb.484:                              ;   in Loop: Header=BB5_450 Depth=1
	v_mov_b32_e32 v16, 0
	s_mov_b64 s[2:3], 0
	v_mov_b32_e32 v17, 0
	s_mov_b64 s[16:17], 0
.LBB5_485:                              ;   Parent Loop BB5_450 Depth=1
                                        ; =>  This Inner Loop Header: Depth=2
	s_add_u32 s20, s14, s16
	s_addc_u32 s21, s15, s17
	global_load_ubyte v6, v28, s[20:21]
	s_add_u32 s16, s16, 1
	s_addc_u32 s17, s17, 0
	s_waitcnt vmcnt(0)
	v_and_b32_e32 v27, 0xffff, v6
	v_lshlrev_b64 v[6:7], s2, v[27:28]
	s_add_u32 s2, s2, 8
	s_addc_u32 s3, s3, 0
	v_or_b32_e32 v16, v6, v16
	s_cmp_lg_u32 s19, s16
	v_or_b32_e32 v17, v7, v17
	s_cbranch_scc1 .LBB5_485
	s_branch .LBB5_488
.LBB5_486:                              ;   in Loop: Header=BB5_450 Depth=1
	s_mov_b32 s18, 0
	s_branch .LBB5_489
.LBB5_487:                              ;   in Loop: Header=BB5_450 Depth=1
	v_mov_b32_e32 v16, 0
	v_mov_b32_e32 v17, 0
.LBB5_488:                              ;   in Loop: Header=BB5_450 Depth=1
	s_mov_b64 s[2:3], s[14:15]
	s_mov_b32 s18, 0
	s_cbranch_execnz .LBB5_490
.LBB5_489:                              ;   in Loop: Header=BB5_450 Depth=1
	global_load_dwordx2 v[16:17], v28, s[14:15]
	s_add_i32 s18, s19, -8
.LBB5_490:                              ;   in Loop: Header=BB5_450 Depth=1
	s_add_u32 s14, s2, 8
	s_addc_u32 s15, s3, 0
	s_cmp_gt_u32 s18, 7
	s_cbranch_scc1 .LBB5_494
; %bb.491:                              ;   in Loop: Header=BB5_450 Depth=1
	s_cmp_eq_u32 s18, 0
	s_cbranch_scc1 .LBB5_495
; %bb.492:                              ;   in Loop: Header=BB5_450 Depth=1
	v_mov_b32_e32 v18, 0
	s_mov_b64 s[14:15], 0
	v_mov_b32_e32 v19, 0
	s_mov_b64 s[16:17], 0
.LBB5_493:                              ;   Parent Loop BB5_450 Depth=1
                                        ; =>  This Inner Loop Header: Depth=2
	s_add_u32 s20, s2, s16
	s_addc_u32 s21, s3, s17
	global_load_ubyte v6, v28, s[20:21]
	s_add_u32 s16, s16, 1
	s_addc_u32 s17, s17, 0
	s_waitcnt vmcnt(0)
	v_and_b32_e32 v27, 0xffff, v6
	v_lshlrev_b64 v[6:7], s14, v[27:28]
	s_add_u32 s14, s14, 8
	s_addc_u32 s15, s15, 0
	v_or_b32_e32 v18, v6, v18
	s_cmp_lg_u32 s18, s16
	v_or_b32_e32 v19, v7, v19
	s_cbranch_scc1 .LBB5_493
	s_branch .LBB5_496
.LBB5_494:                              ;   in Loop: Header=BB5_450 Depth=1
                                        ; implicit-def: $vgpr18_vgpr19
	s_mov_b32 s19, 0
	s_branch .LBB5_497
.LBB5_495:                              ;   in Loop: Header=BB5_450 Depth=1
	v_mov_b32_e32 v18, 0
	v_mov_b32_e32 v19, 0
.LBB5_496:                              ;   in Loop: Header=BB5_450 Depth=1
	s_mov_b64 s[14:15], s[2:3]
	s_mov_b32 s19, 0
	s_cbranch_execnz .LBB5_498
.LBB5_497:                              ;   in Loop: Header=BB5_450 Depth=1
	global_load_dwordx2 v[18:19], v28, s[2:3]
	s_add_i32 s19, s18, -8
.LBB5_498:                              ;   in Loop: Header=BB5_450 Depth=1
	s_cmp_gt_u32 s19, 7
	s_cbranch_scc1 .LBB5_502
; %bb.499:                              ;   in Loop: Header=BB5_450 Depth=1
	s_cmp_eq_u32 s19, 0
	s_cbranch_scc1 .LBB5_503
; %bb.500:                              ;   in Loop: Header=BB5_450 Depth=1
	v_mov_b32_e32 v20, 0
	s_mov_b64 s[2:3], 0
	v_mov_b32_e32 v21, 0
	s_mov_b64 s[16:17], s[14:15]
.LBB5_501:                              ;   Parent Loop BB5_450 Depth=1
                                        ; =>  This Inner Loop Header: Depth=2
	global_load_ubyte v6, v28, s[16:17]
	s_add_i32 s19, s19, -1
	s_waitcnt vmcnt(0)
	v_and_b32_e32 v27, 0xffff, v6
	v_lshlrev_b64 v[6:7], s2, v[27:28]
	s_add_u32 s2, s2, 8
	s_addc_u32 s3, s3, 0
	s_add_u32 s16, s16, 1
	s_addc_u32 s17, s17, 0
	v_or_b32_e32 v20, v6, v20
	s_cmp_lg_u32 s19, 0
	v_or_b32_e32 v21, v7, v21
	s_cbranch_scc1 .LBB5_501
	s_branch .LBB5_504
.LBB5_502:                              ;   in Loop: Header=BB5_450 Depth=1
	s_branch .LBB5_505
.LBB5_503:                              ;   in Loop: Header=BB5_450 Depth=1
	v_mov_b32_e32 v20, 0
	v_mov_b32_e32 v21, 0
.LBB5_504:                              ;   in Loop: Header=BB5_450 Depth=1
	s_cbranch_execnz .LBB5_506
.LBB5_505:                              ;   in Loop: Header=BB5_450 Depth=1
	global_load_dwordx2 v[20:21], v28, s[14:15]
.LBB5_506:                              ;   in Loop: Header=BB5_450 Depth=1
	v_readfirstlane_b32 s2, v33
	v_mov_b32_e32 v6, 0
	v_mov_b32_e32 v7, 0
	v_cmp_eq_u32_e64 s[2:3], s2, v33
	s_and_saveexec_b64 s[14:15], s[2:3]
	s_cbranch_execz .LBB5_512
; %bb.507:                              ;   in Loop: Header=BB5_450 Depth=1
	global_load_dwordx2 v[24:25], v28, s[6:7] offset:24 glc
	s_waitcnt vmcnt(0)
	buffer_wbinvl1_vol
	global_load_dwordx2 v[6:7], v28, s[6:7] offset:40
	global_load_dwordx2 v[22:23], v28, s[6:7]
	s_waitcnt vmcnt(1)
	v_and_b32_e32 v6, v6, v24
	v_and_b32_e32 v7, v7, v25
	v_mul_lo_u32 v7, v7, 24
	v_mul_hi_u32 v27, v6, 24
	v_mul_lo_u32 v6, v6, 24
	v_add_u32_e32 v7, v27, v7
	s_waitcnt vmcnt(0)
	v_add_co_u32_e32 v6, vcc, v22, v6
	v_addc_co_u32_e32 v7, vcc, v23, v7, vcc
	global_load_dwordx2 v[22:23], v[6:7], off glc
	s_waitcnt vmcnt(0)
	global_atomic_cmpswap_x2 v[6:7], v28, v[22:25], s[6:7] offset:24 glc
	s_waitcnt vmcnt(0)
	buffer_wbinvl1_vol
	v_cmp_ne_u64_e32 vcc, v[6:7], v[24:25]
	s_and_saveexec_b64 s[16:17], vcc
	s_cbranch_execz .LBB5_511
; %bb.508:                              ;   in Loop: Header=BB5_450 Depth=1
	s_mov_b64 s[18:19], 0
.LBB5_509:                              ;   Parent Loop BB5_450 Depth=1
                                        ; =>  This Inner Loop Header: Depth=2
	s_sleep 1
	global_load_dwordx2 v[22:23], v28, s[6:7] offset:40
	global_load_dwordx2 v[29:30], v28, s[6:7]
	v_mov_b32_e32 v25, v7
	v_mov_b32_e32 v24, v6
	s_waitcnt vmcnt(1)
	v_and_b32_e32 v6, v22, v24
	s_waitcnt vmcnt(0)
	v_mad_u64_u32 v[6:7], s[20:21], v6, 24, v[29:30]
	v_and_b32_e32 v22, v23, v25
	v_mad_u64_u32 v[22:23], s[20:21], v22, 24, v[7:8]
	v_mov_b32_e32 v7, v22
	global_load_dwordx2 v[22:23], v[6:7], off glc
	s_waitcnt vmcnt(0)
	global_atomic_cmpswap_x2 v[6:7], v28, v[22:25], s[6:7] offset:24 glc
	s_waitcnt vmcnt(0)
	buffer_wbinvl1_vol
	v_cmp_eq_u64_e32 vcc, v[6:7], v[24:25]
	s_or_b64 s[18:19], vcc, s[18:19]
	s_andn2_b64 exec, exec, s[18:19]
	s_cbranch_execnz .LBB5_509
; %bb.510:                              ;   in Loop: Header=BB5_450 Depth=1
	s_or_b64 exec, exec, s[18:19]
.LBB5_511:                              ;   in Loop: Header=BB5_450 Depth=1
	s_or_b64 exec, exec, s[16:17]
.LBB5_512:                              ;   in Loop: Header=BB5_450 Depth=1
	s_or_b64 exec, exec, s[14:15]
	global_load_dwordx2 v[29:30], v28, s[6:7] offset:40
	global_load_dwordx4 v[22:25], v28, s[6:7]
	v_readfirstlane_b32 s15, v7
	v_readfirstlane_b32 s14, v6
	s_mov_b64 s[16:17], exec
	s_waitcnt vmcnt(1)
	v_readfirstlane_b32 s18, v29
	v_readfirstlane_b32 s19, v30
	s_and_b64 s[18:19], s[18:19], s[14:15]
	s_mul_i32 s20, s19, 24
	s_mul_hi_u32 s21, s18, 24
	s_mul_i32 s22, s18, 24
	s_add_i32 s20, s21, s20
	v_mov_b32_e32 v6, s20
	s_waitcnt vmcnt(0)
	v_add_co_u32_e32 v29, vcc, s22, v22
	v_addc_co_u32_e32 v30, vcc, v23, v6, vcc
	s_and_saveexec_b64 s[20:21], s[2:3]
	s_cbranch_execz .LBB5_514
; %bb.513:                              ;   in Loop: Header=BB5_450 Depth=1
	v_mov_b32_e32 v6, s16
	v_mov_b32_e32 v7, s17
	global_store_dwordx4 v[29:30], v[6:9], off offset:8
.LBB5_514:                              ;   in Loop: Header=BB5_450 Depth=1
	s_or_b64 exec, exec, s[20:21]
	s_lshl_b64 s[16:17], s[18:19], 12
	v_mov_b32_e32 v6, s17
	v_add_co_u32_e32 v24, vcc, s16, v24
	v_addc_co_u32_e32 v25, vcc, v25, v6, vcc
	v_cmp_lt_u64_e64 vcc, s[8:9], 57
	s_lshl_b32 s16, s12, 2
	v_cndmask_b32_e32 v6, 0, v34, vcc
	s_add_i32 s16, s16, 28
	v_and_b32_e32 v2, 0xffffff1f, v2
	s_and_b32 s16, s16, 0x1e0
	v_or_b32_e32 v2, v2, v6
	v_or_b32_e32 v2, s16, v2
	v_readfirstlane_b32 s16, v24
	v_readfirstlane_b32 s17, v25
	s_nop 4
	global_store_dwordx4 v32, v[2:5], s[16:17]
	global_store_dwordx4 v32, v[10:13], s[16:17] offset:16
	global_store_dwordx4 v32, v[14:17], s[16:17] offset:32
	;; [unrolled: 1-line block ×3, first 2 shown]
	s_and_saveexec_b64 s[16:17], s[2:3]
	s_cbranch_execz .LBB5_522
; %bb.515:                              ;   in Loop: Header=BB5_450 Depth=1
	global_load_dwordx2 v[12:13], v28, s[6:7] offset:32 glc
	global_load_dwordx2 v[2:3], v28, s[6:7] offset:40
	v_mov_b32_e32 v10, s14
	v_mov_b32_e32 v11, s15
	s_waitcnt vmcnt(0)
	v_readfirstlane_b32 s18, v2
	v_readfirstlane_b32 s19, v3
	s_and_b64 s[18:19], s[18:19], s[14:15]
	s_mul_i32 s19, s19, 24
	s_mul_hi_u32 s20, s18, 24
	s_mul_i32 s18, s18, 24
	s_add_i32 s19, s20, s19
	v_mov_b32_e32 v2, s19
	v_add_co_u32_e32 v6, vcc, s18, v22
	v_addc_co_u32_e32 v7, vcc, v23, v2, vcc
	global_store_dwordx2 v[6:7], v[12:13], off
	s_waitcnt vmcnt(0)
	global_atomic_cmpswap_x2 v[4:5], v28, v[10:13], s[6:7] offset:32 glc
	s_waitcnt vmcnt(0)
	v_cmp_ne_u64_e32 vcc, v[4:5], v[12:13]
	s_and_saveexec_b64 s[18:19], vcc
	s_cbranch_execz .LBB5_518
; %bb.516:                              ;   in Loop: Header=BB5_450 Depth=1
	s_mov_b64 s[20:21], 0
.LBB5_517:                              ;   Parent Loop BB5_450 Depth=1
                                        ; =>  This Inner Loop Header: Depth=2
	s_sleep 1
	global_store_dwordx2 v[6:7], v[4:5], off
	v_mov_b32_e32 v2, s14
	v_mov_b32_e32 v3, s15
	s_waitcnt vmcnt(0)
	global_atomic_cmpswap_x2 v[2:3], v28, v[2:5], s[6:7] offset:32 glc
	s_waitcnt vmcnt(0)
	v_cmp_eq_u64_e32 vcc, v[2:3], v[4:5]
	v_mov_b32_e32 v5, v3
	s_or_b64 s[20:21], vcc, s[20:21]
	v_mov_b32_e32 v4, v2
	s_andn2_b64 exec, exec, s[20:21]
	s_cbranch_execnz .LBB5_517
.LBB5_518:                              ;   in Loop: Header=BB5_450 Depth=1
	s_or_b64 exec, exec, s[18:19]
	global_load_dwordx2 v[2:3], v28, s[6:7] offset:16
	s_mov_b64 s[20:21], exec
	v_mbcnt_lo_u32_b32 v4, s20, 0
	v_mbcnt_hi_u32_b32 v4, s21, v4
	v_cmp_eq_u32_e32 vcc, 0, v4
	s_and_saveexec_b64 s[18:19], vcc
	s_cbranch_execz .LBB5_520
; %bb.519:                              ;   in Loop: Header=BB5_450 Depth=1
	s_bcnt1_i32_b64 s20, s[20:21]
	v_mov_b32_e32 v27, s20
	s_waitcnt vmcnt(0)
	global_atomic_add_x2 v[2:3], v[27:28], off offset:8
.LBB5_520:                              ;   in Loop: Header=BB5_450 Depth=1
	s_or_b64 exec, exec, s[18:19]
	s_waitcnt vmcnt(0)
	global_load_dwordx2 v[4:5], v[2:3], off offset:16
	s_waitcnt vmcnt(0)
	v_cmp_eq_u64_e32 vcc, 0, v[4:5]
	s_cbranch_vccnz .LBB5_522
; %bb.521:                              ;   in Loop: Header=BB5_450 Depth=1
	global_load_dword v27, v[2:3], off offset:24
	s_waitcnt vmcnt(0)
	v_readfirstlane_b32 s18, v27
	s_and_b32 m0, s18, 0xffffff
	global_store_dwordx2 v[4:5], v[27:28], off
	s_sendmsg sendmsg(MSG_INTERRUPT)
.LBB5_522:                              ;   in Loop: Header=BB5_450 Depth=1
	s_or_b64 exec, exec, s[16:17]
	v_add_co_u32_e32 v2, vcc, v24, v32
	v_addc_co_u32_e32 v3, vcc, 0, v25, vcc
	s_branch .LBB5_526
.LBB5_523:                              ;   in Loop: Header=BB5_526 Depth=2
	s_or_b64 exec, exec, s[16:17]
	v_readfirstlane_b32 s16, v4
	s_cmp_eq_u32 s16, 0
	s_cbranch_scc1 .LBB5_525
; %bb.524:                              ;   in Loop: Header=BB5_526 Depth=2
	s_sleep 1
	s_cbranch_execnz .LBB5_526
	s_branch .LBB5_528
.LBB5_525:                              ;   in Loop: Header=BB5_450 Depth=1
	s_branch .LBB5_528
.LBB5_526:                              ;   Parent Loop BB5_450 Depth=1
                                        ; =>  This Inner Loop Header: Depth=2
	v_mov_b32_e32 v4, 1
	s_and_saveexec_b64 s[16:17], s[2:3]
	s_cbranch_execz .LBB5_523
; %bb.527:                              ;   in Loop: Header=BB5_526 Depth=2
	global_load_dword v4, v[29:30], off offset:20 glc
	s_waitcnt vmcnt(0)
	buffer_wbinvl1_vol
	v_and_b32_e32 v4, 1, v4
	s_branch .LBB5_523
.LBB5_528:                              ;   in Loop: Header=BB5_450 Depth=1
	global_load_dwordx2 v[2:3], v[2:3], off
	s_and_saveexec_b64 s[16:17], s[2:3]
	s_cbranch_execz .LBB5_449
; %bb.529:                              ;   in Loop: Header=BB5_450 Depth=1
	global_load_dwordx2 v[4:5], v28, s[6:7] offset:40
	global_load_dwordx2 v[14:15], v28, s[6:7] offset:24 glc
	global_load_dwordx2 v[6:7], v28, s[6:7]
	s_waitcnt vmcnt(2)
	v_readfirstlane_b32 s18, v4
	v_readfirstlane_b32 s19, v5
	s_add_u32 s20, s18, 1
	s_addc_u32 s21, s19, 0
	s_add_u32 s2, s20, s14
	s_addc_u32 s3, s21, s15
	s_cmp_eq_u64 s[2:3], 0
	s_cselect_b32 s3, s21, s3
	s_cselect_b32 s2, s20, s2
	s_and_b64 s[14:15], s[2:3], s[18:19]
	s_mul_i32 s15, s15, 24
	s_mul_hi_u32 s18, s14, 24
	s_mul_i32 s14, s14, 24
	s_add_i32 s15, s18, s15
	v_mov_b32_e32 v4, s15
	s_waitcnt vmcnt(0)
	v_add_co_u32_e32 v10, vcc, s14, v6
	v_addc_co_u32_e32 v11, vcc, v7, v4, vcc
	v_mov_b32_e32 v12, s2
	global_store_dwordx2 v[10:11], v[14:15], off
	v_mov_b32_e32 v13, s3
	s_waitcnt vmcnt(0)
	global_atomic_cmpswap_x2 v[6:7], v28, v[12:15], s[6:7] offset:24 glc
	s_waitcnt vmcnt(0)
	v_cmp_ne_u64_e32 vcc, v[6:7], v[14:15]
	s_and_b64 exec, exec, vcc
	s_cbranch_execz .LBB5_449
; %bb.530:                              ;   in Loop: Header=BB5_450 Depth=1
	s_mov_b64 s[14:15], 0
.LBB5_531:                              ;   Parent Loop BB5_450 Depth=1
                                        ; =>  This Inner Loop Header: Depth=2
	s_sleep 1
	global_store_dwordx2 v[10:11], v[6:7], off
	v_mov_b32_e32 v4, s2
	v_mov_b32_e32 v5, s3
	s_waitcnt vmcnt(0)
	global_atomic_cmpswap_x2 v[4:5], v28, v[4:7], s[6:7] offset:24 glc
	s_waitcnt vmcnt(0)
	v_cmp_eq_u64_e32 vcc, v[4:5], v[6:7]
	v_mov_b32_e32 v7, v5
	s_or_b64 s[14:15], vcc, s[14:15]
	v_mov_b32_e32 v6, v4
	s_andn2_b64 exec, exec, s[14:15]
	s_cbranch_execnz .LBB5_531
	s_branch .LBB5_449
.LBB5_532:
	s_branch .LBB5_560
.LBB5_533:
                                        ; implicit-def: $vgpr2_vgpr3
	s_cbranch_execz .LBB5_560
; %bb.534:
	v_readfirstlane_b32 s2, v33
	v_mov_b32_e32 v8, 0
	v_mov_b32_e32 v9, 0
	v_cmp_eq_u32_e64 s[2:3], s2, v33
	s_and_saveexec_b64 s[8:9], s[2:3]
	s_cbranch_execz .LBB5_540
; %bb.535:
	s_waitcnt vmcnt(0)
	v_mov_b32_e32 v2, 0
	global_load_dwordx2 v[5:6], v2, s[6:7] offset:24 glc
	s_waitcnt vmcnt(0)
	buffer_wbinvl1_vol
	global_load_dwordx2 v[3:4], v2, s[6:7] offset:40
	global_load_dwordx2 v[7:8], v2, s[6:7]
	s_waitcnt vmcnt(1)
	v_and_b32_e32 v3, v3, v5
	v_and_b32_e32 v4, v4, v6
	v_mul_lo_u32 v4, v4, 24
	v_mul_hi_u32 v9, v3, 24
	v_mul_lo_u32 v3, v3, 24
	v_add_u32_e32 v4, v9, v4
	s_waitcnt vmcnt(0)
	v_add_co_u32_e32 v3, vcc, v7, v3
	v_addc_co_u32_e32 v4, vcc, v8, v4, vcc
	global_load_dwordx2 v[3:4], v[3:4], off glc
	s_waitcnt vmcnt(0)
	global_atomic_cmpswap_x2 v[8:9], v2, v[3:6], s[6:7] offset:24 glc
	s_waitcnt vmcnt(0)
	buffer_wbinvl1_vol
	v_cmp_ne_u64_e32 vcc, v[8:9], v[5:6]
	s_and_saveexec_b64 s[10:11], vcc
	s_cbranch_execz .LBB5_539
; %bb.536:
	s_mov_b64 s[12:13], 0
.LBB5_537:                              ; =>This Inner Loop Header: Depth=1
	s_sleep 1
	global_load_dwordx2 v[3:4], v2, s[6:7] offset:40
	global_load_dwordx2 v[10:11], v2, s[6:7]
	v_mov_b32_e32 v5, v8
	v_mov_b32_e32 v6, v9
	s_waitcnt vmcnt(1)
	v_and_b32_e32 v3, v3, v5
	s_waitcnt vmcnt(0)
	v_mad_u64_u32 v[7:8], s[14:15], v3, 24, v[10:11]
	v_and_b32_e32 v4, v4, v6
	v_mov_b32_e32 v3, v8
	v_mad_u64_u32 v[3:4], s[14:15], v4, 24, v[3:4]
	v_mov_b32_e32 v8, v3
	global_load_dwordx2 v[3:4], v[7:8], off glc
	s_waitcnt vmcnt(0)
	global_atomic_cmpswap_x2 v[8:9], v2, v[3:6], s[6:7] offset:24 glc
	s_waitcnt vmcnt(0)
	buffer_wbinvl1_vol
	v_cmp_eq_u64_e32 vcc, v[8:9], v[5:6]
	s_or_b64 s[12:13], vcc, s[12:13]
	s_andn2_b64 exec, exec, s[12:13]
	s_cbranch_execnz .LBB5_537
; %bb.538:
	s_or_b64 exec, exec, s[12:13]
.LBB5_539:
	s_or_b64 exec, exec, s[10:11]
.LBB5_540:
	s_or_b64 exec, exec, s[8:9]
	s_waitcnt vmcnt(0)
	v_mov_b32_e32 v2, 0
	global_load_dwordx2 v[10:11], v2, s[6:7] offset:40
	global_load_dwordx4 v[4:7], v2, s[6:7]
	v_readfirstlane_b32 s9, v9
	v_readfirstlane_b32 s8, v8
	s_mov_b64 s[10:11], exec
	s_waitcnt vmcnt(1)
	v_readfirstlane_b32 s12, v10
	v_readfirstlane_b32 s13, v11
	s_and_b64 s[12:13], s[12:13], s[8:9]
	s_mul_i32 s14, s13, 24
	s_mul_hi_u32 s15, s12, 24
	s_mul_i32 s16, s12, 24
	s_add_i32 s14, s15, s14
	v_mov_b32_e32 v3, s14
	s_waitcnt vmcnt(0)
	v_add_co_u32_e32 v8, vcc, s16, v4
	v_addc_co_u32_e32 v9, vcc, v5, v3, vcc
	s_and_saveexec_b64 s[14:15], s[2:3]
	s_cbranch_execz .LBB5_542
; %bb.541:
	v_mov_b32_e32 v10, s10
	v_mov_b32_e32 v11, s11
	;; [unrolled: 1-line block ×4, first 2 shown]
	global_store_dwordx4 v[8:9], v[10:13], off offset:8
.LBB5_542:
	s_or_b64 exec, exec, s[14:15]
	s_lshl_b64 s[10:11], s[12:13], 12
	v_mov_b32_e32 v3, s11
	v_add_co_u32_e32 v10, vcc, s10, v6
	v_addc_co_u32_e32 v11, vcc, v7, v3, vcc
	s_movk_i32 s10, 0xff1f
	v_and_or_b32 v0, v0, s10, 32
	s_mov_b32 s12, 0
	v_mov_b32_e32 v3, v2
	v_readfirstlane_b32 s10, v10
	v_readfirstlane_b32 s11, v11
	v_add_co_u32_e32 v6, vcc, v10, v32
	s_mov_b32 s13, s12
	s_mov_b32 s14, s12
	;; [unrolled: 1-line block ×3, first 2 shown]
	s_nop 0
	global_store_dwordx4 v32, v[0:3], s[10:11]
	v_addc_co_u32_e32 v7, vcc, 0, v11, vcc
	v_mov_b32_e32 v0, s12
	v_mov_b32_e32 v1, s13
	;; [unrolled: 1-line block ×4, first 2 shown]
	global_store_dwordx4 v32, v[0:3], s[10:11] offset:16
	global_store_dwordx4 v32, v[0:3], s[10:11] offset:32
	;; [unrolled: 1-line block ×3, first 2 shown]
	s_and_saveexec_b64 s[10:11], s[2:3]
	s_cbranch_execz .LBB5_550
; %bb.543:
	v_mov_b32_e32 v10, 0
	global_load_dwordx2 v[13:14], v10, s[6:7] offset:32 glc
	global_load_dwordx2 v[0:1], v10, s[6:7] offset:40
	v_mov_b32_e32 v11, s8
	v_mov_b32_e32 v12, s9
	s_waitcnt vmcnt(0)
	v_readfirstlane_b32 s12, v0
	v_readfirstlane_b32 s13, v1
	s_and_b64 s[12:13], s[12:13], s[8:9]
	s_mul_i32 s13, s13, 24
	s_mul_hi_u32 s14, s12, 24
	s_mul_i32 s12, s12, 24
	s_add_i32 s13, s14, s13
	v_mov_b32_e32 v0, s13
	v_add_co_u32_e32 v4, vcc, s12, v4
	v_addc_co_u32_e32 v5, vcc, v5, v0, vcc
	global_store_dwordx2 v[4:5], v[13:14], off
	s_waitcnt vmcnt(0)
	global_atomic_cmpswap_x2 v[2:3], v10, v[11:14], s[6:7] offset:32 glc
	s_waitcnt vmcnt(0)
	v_cmp_ne_u64_e32 vcc, v[2:3], v[13:14]
	s_and_saveexec_b64 s[12:13], vcc
	s_cbranch_execz .LBB5_546
; %bb.544:
	s_mov_b64 s[14:15], 0
.LBB5_545:                              ; =>This Inner Loop Header: Depth=1
	s_sleep 1
	global_store_dwordx2 v[4:5], v[2:3], off
	v_mov_b32_e32 v0, s8
	v_mov_b32_e32 v1, s9
	s_waitcnt vmcnt(0)
	global_atomic_cmpswap_x2 v[0:1], v10, v[0:3], s[6:7] offset:32 glc
	s_waitcnt vmcnt(0)
	v_cmp_eq_u64_e32 vcc, v[0:1], v[2:3]
	v_mov_b32_e32 v3, v1
	s_or_b64 s[14:15], vcc, s[14:15]
	v_mov_b32_e32 v2, v0
	s_andn2_b64 exec, exec, s[14:15]
	s_cbranch_execnz .LBB5_545
.LBB5_546:
	s_or_b64 exec, exec, s[12:13]
	v_mov_b32_e32 v3, 0
	global_load_dwordx2 v[0:1], v3, s[6:7] offset:16
	s_mov_b64 s[12:13], exec
	v_mbcnt_lo_u32_b32 v2, s12, 0
	v_mbcnt_hi_u32_b32 v2, s13, v2
	v_cmp_eq_u32_e32 vcc, 0, v2
	s_and_saveexec_b64 s[14:15], vcc
	s_cbranch_execz .LBB5_548
; %bb.547:
	s_bcnt1_i32_b64 s12, s[12:13]
	v_mov_b32_e32 v2, s12
	s_waitcnt vmcnt(0)
	global_atomic_add_x2 v[0:1], v[2:3], off offset:8
.LBB5_548:
	s_or_b64 exec, exec, s[14:15]
	s_waitcnt vmcnt(0)
	global_load_dwordx2 v[2:3], v[0:1], off offset:16
	s_waitcnt vmcnt(0)
	v_cmp_eq_u64_e32 vcc, 0, v[2:3]
	s_cbranch_vccnz .LBB5_550
; %bb.549:
	global_load_dword v0, v[0:1], off offset:24
	v_mov_b32_e32 v1, 0
	s_waitcnt vmcnt(0)
	v_readfirstlane_b32 s12, v0
	s_and_b32 m0, s12, 0xffffff
	global_store_dwordx2 v[2:3], v[0:1], off
	s_sendmsg sendmsg(MSG_INTERRUPT)
.LBB5_550:
	s_or_b64 exec, exec, s[10:11]
	s_branch .LBB5_554
.LBB5_551:                              ;   in Loop: Header=BB5_554 Depth=1
	s_or_b64 exec, exec, s[10:11]
	v_readfirstlane_b32 s10, v0
	s_cmp_eq_u32 s10, 0
	s_cbranch_scc1 .LBB5_553
; %bb.552:                              ;   in Loop: Header=BB5_554 Depth=1
	s_sleep 1
	s_cbranch_execnz .LBB5_554
	s_branch .LBB5_556
.LBB5_553:
	s_branch .LBB5_556
.LBB5_554:                              ; =>This Inner Loop Header: Depth=1
	v_mov_b32_e32 v0, 1
	s_and_saveexec_b64 s[10:11], s[2:3]
	s_cbranch_execz .LBB5_551
; %bb.555:                              ;   in Loop: Header=BB5_554 Depth=1
	global_load_dword v0, v[8:9], off offset:20 glc
	s_waitcnt vmcnt(0)
	buffer_wbinvl1_vol
	v_and_b32_e32 v0, 1, v0
	s_branch .LBB5_551
.LBB5_556:
	global_load_dwordx2 v[2:3], v[6:7], off
	s_and_saveexec_b64 s[10:11], s[2:3]
	s_cbranch_execz .LBB5_559
; %bb.557:
	v_mov_b32_e32 v8, 0
	global_load_dwordx2 v[0:1], v8, s[6:7] offset:40
	global_load_dwordx2 v[11:12], v8, s[6:7] offset:24 glc
	global_load_dwordx2 v[4:5], v8, s[6:7]
	s_waitcnt vmcnt(2)
	v_readfirstlane_b32 s12, v0
	v_readfirstlane_b32 s13, v1
	s_add_u32 s14, s12, 1
	s_addc_u32 s15, s13, 0
	s_add_u32 s2, s14, s8
	s_addc_u32 s3, s15, s9
	s_cmp_eq_u64 s[2:3], 0
	s_cselect_b32 s3, s15, s3
	s_cselect_b32 s2, s14, s2
	s_and_b64 s[8:9], s[2:3], s[12:13]
	s_mul_i32 s9, s9, 24
	s_mul_hi_u32 s12, s8, 24
	s_mul_i32 s8, s8, 24
	s_add_i32 s9, s12, s9
	v_mov_b32_e32 v1, s9
	s_waitcnt vmcnt(0)
	v_add_co_u32_e32 v0, vcc, s8, v4
	v_addc_co_u32_e32 v1, vcc, v5, v1, vcc
	v_mov_b32_e32 v9, s2
	global_store_dwordx2 v[0:1], v[11:12], off
	v_mov_b32_e32 v10, s3
	s_waitcnt vmcnt(0)
	global_atomic_cmpswap_x2 v[6:7], v8, v[9:12], s[6:7] offset:24 glc
	s_mov_b64 s[8:9], 0
	s_waitcnt vmcnt(0)
	v_cmp_ne_u64_e32 vcc, v[6:7], v[11:12]
	s_and_b64 exec, exec, vcc
	s_cbranch_execz .LBB5_559
.LBB5_558:                              ; =>This Inner Loop Header: Depth=1
	s_sleep 1
	global_store_dwordx2 v[0:1], v[6:7], off
	v_mov_b32_e32 v4, s2
	v_mov_b32_e32 v5, s3
	s_waitcnt vmcnt(0)
	global_atomic_cmpswap_x2 v[4:5], v8, v[4:7], s[6:7] offset:24 glc
	s_waitcnt vmcnt(0)
	v_cmp_eq_u64_e32 vcc, v[4:5], v[6:7]
	v_mov_b32_e32 v7, v5
	s_or_b64 s[8:9], vcc, s[8:9]
	v_mov_b32_e32 v6, v4
	s_andn2_b64 exec, exec, s[8:9]
	s_cbranch_execnz .LBB5_558
.LBB5_559:
	s_or_b64 exec, exec, s[10:11]
.LBB5_560:
	v_readfirstlane_b32 s2, v33
	s_waitcnt vmcnt(0)
	v_mov_b32_e32 v0, 0
	v_mov_b32_e32 v1, 0
	v_cmp_eq_u32_e64 s[2:3], s2, v33
	s_and_saveexec_b64 s[8:9], s[2:3]
	s_cbranch_execz .LBB5_566
; %bb.561:
	v_mov_b32_e32 v4, 0
	global_load_dwordx2 v[7:8], v4, s[6:7] offset:24 glc
	s_waitcnt vmcnt(0)
	buffer_wbinvl1_vol
	global_load_dwordx2 v[0:1], v4, s[6:7] offset:40
	global_load_dwordx2 v[5:6], v4, s[6:7]
	s_waitcnt vmcnt(1)
	v_and_b32_e32 v0, v0, v7
	v_and_b32_e32 v1, v1, v8
	v_mul_lo_u32 v1, v1, 24
	v_mul_hi_u32 v9, v0, 24
	v_mul_lo_u32 v0, v0, 24
	v_add_u32_e32 v1, v9, v1
	s_waitcnt vmcnt(0)
	v_add_co_u32_e32 v0, vcc, v5, v0
	v_addc_co_u32_e32 v1, vcc, v6, v1, vcc
	global_load_dwordx2 v[5:6], v[0:1], off glc
	s_waitcnt vmcnt(0)
	global_atomic_cmpswap_x2 v[0:1], v4, v[5:8], s[6:7] offset:24 glc
	s_waitcnt vmcnt(0)
	buffer_wbinvl1_vol
	v_cmp_ne_u64_e32 vcc, v[0:1], v[7:8]
	s_and_saveexec_b64 s[10:11], vcc
	s_cbranch_execz .LBB5_565
; %bb.562:
	s_mov_b64 s[12:13], 0
.LBB5_563:                              ; =>This Inner Loop Header: Depth=1
	s_sleep 1
	global_load_dwordx2 v[5:6], v4, s[6:7] offset:40
	global_load_dwordx2 v[9:10], v4, s[6:7]
	v_mov_b32_e32 v8, v1
	v_mov_b32_e32 v7, v0
	s_waitcnt vmcnt(1)
	v_and_b32_e32 v0, v5, v7
	s_waitcnt vmcnt(0)
	v_mad_u64_u32 v[0:1], s[14:15], v0, 24, v[9:10]
	v_and_b32_e32 v5, v6, v8
	v_mad_u64_u32 v[5:6], s[14:15], v5, 24, v[1:2]
	v_mov_b32_e32 v1, v5
	global_load_dwordx2 v[5:6], v[0:1], off glc
	s_waitcnt vmcnt(0)
	global_atomic_cmpswap_x2 v[0:1], v4, v[5:8], s[6:7] offset:24 glc
	s_waitcnt vmcnt(0)
	buffer_wbinvl1_vol
	v_cmp_eq_u64_e32 vcc, v[0:1], v[7:8]
	s_or_b64 s[12:13], vcc, s[12:13]
	s_andn2_b64 exec, exec, s[12:13]
	s_cbranch_execnz .LBB5_563
; %bb.564:
	s_or_b64 exec, exec, s[12:13]
.LBB5_565:
	s_or_b64 exec, exec, s[10:11]
.LBB5_566:
	s_or_b64 exec, exec, s[8:9]
	v_mov_b32_e32 v5, 0
	global_load_dwordx2 v[10:11], v5, s[6:7] offset:40
	global_load_dwordx4 v[6:9], v5, s[6:7]
	v_readfirstlane_b32 s9, v1
	v_readfirstlane_b32 s8, v0
	s_mov_b64 s[10:11], exec
	s_waitcnt vmcnt(1)
	v_readfirstlane_b32 s12, v10
	v_readfirstlane_b32 s13, v11
	s_and_b64 s[12:13], s[12:13], s[8:9]
	s_mul_i32 s14, s13, 24
	s_mul_hi_u32 s15, s12, 24
	s_mul_i32 s16, s12, 24
	s_add_i32 s14, s15, s14
	v_mov_b32_e32 v0, s14
	s_waitcnt vmcnt(0)
	v_add_co_u32_e32 v10, vcc, s16, v6
	v_addc_co_u32_e32 v11, vcc, v7, v0, vcc
	s_and_saveexec_b64 s[14:15], s[2:3]
	s_cbranch_execz .LBB5_568
; %bb.567:
	v_mov_b32_e32 v13, s11
	v_mov_b32_e32 v12, s10
	v_mov_b32_e32 v14, 2
	v_mov_b32_e32 v15, 1
	global_store_dwordx4 v[10:11], v[12:15], off offset:8
.LBB5_568:
	s_or_b64 exec, exec, s[14:15]
	s_lshl_b64 s[10:11], s[12:13], 12
	v_mov_b32_e32 v0, s11
	v_add_co_u32_e32 v1, vcc, s10, v8
	v_addc_co_u32_e32 v0, vcc, v9, v0, vcc
	s_movk_i32 s10, 0xff1f
	v_and_or_b32 v2, v2, s10, 32
	v_add_co_u32_e32 v8, vcc, v1, v32
	s_mov_b32 s12, 0
	v_mov_b32_e32 v4, 15
	v_readfirstlane_b32 s10, v1
	v_readfirstlane_b32 s11, v0
	v_addc_co_u32_e32 v9, vcc, 0, v0, vcc
	s_mov_b32 s13, s12
	s_mov_b32 s14, s12
	;; [unrolled: 1-line block ×3, first 2 shown]
	s_nop 0
	global_store_dwordx4 v32, v[2:5], s[10:11]
	v_mov_b32_e32 v0, s12
	v_mov_b32_e32 v1, s13
	;; [unrolled: 1-line block ×4, first 2 shown]
	global_store_dwordx4 v32, v[0:3], s[10:11] offset:16
	global_store_dwordx4 v32, v[0:3], s[10:11] offset:32
	;; [unrolled: 1-line block ×3, first 2 shown]
	s_and_saveexec_b64 s[10:11], s[2:3]
	s_cbranch_execz .LBB5_576
; %bb.569:
	v_mov_b32_e32 v12, 0
	global_load_dwordx2 v[15:16], v12, s[6:7] offset:32 glc
	global_load_dwordx2 v[0:1], v12, s[6:7] offset:40
	v_mov_b32_e32 v13, s8
	v_mov_b32_e32 v14, s9
	s_waitcnt vmcnt(0)
	v_readfirstlane_b32 s12, v0
	v_readfirstlane_b32 s13, v1
	s_and_b64 s[12:13], s[12:13], s[8:9]
	s_mul_i32 s13, s13, 24
	s_mul_hi_u32 s14, s12, 24
	s_mul_i32 s12, s12, 24
	s_add_i32 s13, s14, s13
	v_mov_b32_e32 v0, s13
	v_add_co_u32_e32 v4, vcc, s12, v6
	v_addc_co_u32_e32 v5, vcc, v7, v0, vcc
	global_store_dwordx2 v[4:5], v[15:16], off
	s_waitcnt vmcnt(0)
	global_atomic_cmpswap_x2 v[2:3], v12, v[13:16], s[6:7] offset:32 glc
	s_waitcnt vmcnt(0)
	v_cmp_ne_u64_e32 vcc, v[2:3], v[15:16]
	s_and_saveexec_b64 s[12:13], vcc
	s_cbranch_execz .LBB5_572
; %bb.570:
	s_mov_b64 s[14:15], 0
.LBB5_571:                              ; =>This Inner Loop Header: Depth=1
	s_sleep 1
	global_store_dwordx2 v[4:5], v[2:3], off
	v_mov_b32_e32 v0, s8
	v_mov_b32_e32 v1, s9
	s_waitcnt vmcnt(0)
	global_atomic_cmpswap_x2 v[0:1], v12, v[0:3], s[6:7] offset:32 glc
	s_waitcnt vmcnt(0)
	v_cmp_eq_u64_e32 vcc, v[0:1], v[2:3]
	v_mov_b32_e32 v3, v1
	s_or_b64 s[14:15], vcc, s[14:15]
	v_mov_b32_e32 v2, v0
	s_andn2_b64 exec, exec, s[14:15]
	s_cbranch_execnz .LBB5_571
.LBB5_572:
	s_or_b64 exec, exec, s[12:13]
	v_mov_b32_e32 v3, 0
	global_load_dwordx2 v[0:1], v3, s[6:7] offset:16
	s_mov_b64 s[12:13], exec
	v_mbcnt_lo_u32_b32 v2, s12, 0
	v_mbcnt_hi_u32_b32 v2, s13, v2
	v_cmp_eq_u32_e32 vcc, 0, v2
	s_and_saveexec_b64 s[14:15], vcc
	s_cbranch_execz .LBB5_574
; %bb.573:
	s_bcnt1_i32_b64 s12, s[12:13]
	v_mov_b32_e32 v2, s12
	s_waitcnt vmcnt(0)
	global_atomic_add_x2 v[0:1], v[2:3], off offset:8
.LBB5_574:
	s_or_b64 exec, exec, s[14:15]
	s_waitcnt vmcnt(0)
	global_load_dwordx2 v[2:3], v[0:1], off offset:16
	s_waitcnt vmcnt(0)
	v_cmp_eq_u64_e32 vcc, 0, v[2:3]
	s_cbranch_vccnz .LBB5_576
; %bb.575:
	global_load_dword v0, v[0:1], off offset:24
	v_mov_b32_e32 v1, 0
	s_waitcnt vmcnt(0)
	v_readfirstlane_b32 s12, v0
	s_and_b32 m0, s12, 0xffffff
	global_store_dwordx2 v[2:3], v[0:1], off
	s_sendmsg sendmsg(MSG_INTERRUPT)
.LBB5_576:
	s_or_b64 exec, exec, s[10:11]
	s_branch .LBB5_580
.LBB5_577:                              ;   in Loop: Header=BB5_580 Depth=1
	s_or_b64 exec, exec, s[10:11]
	v_readfirstlane_b32 s10, v0
	s_cmp_eq_u32 s10, 0
	s_cbranch_scc1 .LBB5_579
; %bb.578:                              ;   in Loop: Header=BB5_580 Depth=1
	s_sleep 1
	s_cbranch_execnz .LBB5_580
	s_branch .LBB5_582
.LBB5_579:
	s_branch .LBB5_582
.LBB5_580:                              ; =>This Inner Loop Header: Depth=1
	v_mov_b32_e32 v0, 1
	s_and_saveexec_b64 s[10:11], s[2:3]
	s_cbranch_execz .LBB5_577
; %bb.581:                              ;   in Loop: Header=BB5_580 Depth=1
	global_load_dword v0, v[10:11], off offset:20 glc
	s_waitcnt vmcnt(0)
	buffer_wbinvl1_vol
	v_and_b32_e32 v0, 1, v0
	s_branch .LBB5_577
.LBB5_582:
	global_load_dwordx2 v[0:1], v[8:9], off
	s_and_saveexec_b64 s[10:11], s[2:3]
	s_cbranch_execz .LBB5_585
; %bb.583:
	v_mov_b32_e32 v8, 0
	global_load_dwordx2 v[2:3], v8, s[6:7] offset:40
	global_load_dwordx2 v[11:12], v8, s[6:7] offset:24 glc
	global_load_dwordx2 v[4:5], v8, s[6:7]
	s_waitcnt vmcnt(2)
	v_readfirstlane_b32 s12, v2
	v_readfirstlane_b32 s13, v3
	s_add_u32 s14, s12, 1
	s_addc_u32 s15, s13, 0
	s_add_u32 s2, s14, s8
	s_addc_u32 s3, s15, s9
	s_cmp_eq_u64 s[2:3], 0
	s_cselect_b32 s3, s15, s3
	s_cselect_b32 s2, s14, s2
	s_and_b64 s[8:9], s[2:3], s[12:13]
	s_mul_i32 s9, s9, 24
	s_mul_hi_u32 s12, s8, 24
	s_mul_i32 s8, s8, 24
	s_add_i32 s9, s12, s9
	v_mov_b32_e32 v2, s9
	s_waitcnt vmcnt(0)
	v_add_co_u32_e32 v6, vcc, s8, v4
	v_addc_co_u32_e32 v7, vcc, v5, v2, vcc
	v_mov_b32_e32 v9, s2
	global_store_dwordx2 v[6:7], v[11:12], off
	v_mov_b32_e32 v10, s3
	s_waitcnt vmcnt(0)
	global_atomic_cmpswap_x2 v[4:5], v8, v[9:12], s[6:7] offset:24 glc
	s_mov_b64 s[8:9], 0
	s_waitcnt vmcnt(0)
	v_cmp_ne_u64_e32 vcc, v[4:5], v[11:12]
	s_and_b64 exec, exec, vcc
	s_cbranch_execz .LBB5_585
.LBB5_584:                              ; =>This Inner Loop Header: Depth=1
	s_sleep 1
	global_store_dwordx2 v[6:7], v[4:5], off
	v_mov_b32_e32 v2, s2
	v_mov_b32_e32 v3, s3
	s_waitcnt vmcnt(0)
	global_atomic_cmpswap_x2 v[2:3], v8, v[2:5], s[6:7] offset:24 glc
	s_waitcnt vmcnt(0)
	v_cmp_eq_u64_e32 vcc, v[2:3], v[4:5]
	v_mov_b32_e32 v5, v3
	s_or_b64 s[8:9], vcc, s[8:9]
	v_mov_b32_e32 v4, v2
	s_andn2_b64 exec, exec, s[8:9]
	s_cbranch_execnz .LBB5_584
.LBB5_585:
	s_or_b64 exec, exec, s[10:11]
	v_readfirstlane_b32 s2, v33
	v_mov_b32_e32 v8, 0
	v_mov_b32_e32 v9, 0
	v_cmp_eq_u32_e64 s[2:3], s2, v33
	s_and_saveexec_b64 s[8:9], s[2:3]
	s_cbranch_execz .LBB5_591
; %bb.586:
	v_mov_b32_e32 v2, 0
	global_load_dwordx2 v[5:6], v2, s[6:7] offset:24 glc
	s_waitcnt vmcnt(0)
	buffer_wbinvl1_vol
	global_load_dwordx2 v[3:4], v2, s[6:7] offset:40
	global_load_dwordx2 v[7:8], v2, s[6:7]
	s_waitcnt vmcnt(1)
	v_and_b32_e32 v3, v3, v5
	v_and_b32_e32 v4, v4, v6
	v_mul_lo_u32 v4, v4, 24
	v_mul_hi_u32 v9, v3, 24
	v_mul_lo_u32 v3, v3, 24
	v_add_u32_e32 v4, v9, v4
	s_waitcnt vmcnt(0)
	v_add_co_u32_e32 v3, vcc, v7, v3
	v_addc_co_u32_e32 v4, vcc, v8, v4, vcc
	global_load_dwordx2 v[3:4], v[3:4], off glc
	s_waitcnt vmcnt(0)
	global_atomic_cmpswap_x2 v[8:9], v2, v[3:6], s[6:7] offset:24 glc
	s_waitcnt vmcnt(0)
	buffer_wbinvl1_vol
	v_cmp_ne_u64_e32 vcc, v[8:9], v[5:6]
	s_and_saveexec_b64 s[10:11], vcc
	s_cbranch_execz .LBB5_590
; %bb.587:
	s_mov_b64 s[12:13], 0
.LBB5_588:                              ; =>This Inner Loop Header: Depth=1
	s_sleep 1
	global_load_dwordx2 v[3:4], v2, s[6:7] offset:40
	global_load_dwordx2 v[10:11], v2, s[6:7]
	v_mov_b32_e32 v5, v8
	v_mov_b32_e32 v6, v9
	s_waitcnt vmcnt(1)
	v_and_b32_e32 v3, v3, v5
	s_waitcnt vmcnt(0)
	v_mad_u64_u32 v[7:8], s[14:15], v3, 24, v[10:11]
	v_and_b32_e32 v4, v4, v6
	v_mov_b32_e32 v3, v8
	v_mad_u64_u32 v[3:4], s[14:15], v4, 24, v[3:4]
	v_mov_b32_e32 v8, v3
	global_load_dwordx2 v[3:4], v[7:8], off glc
	s_waitcnt vmcnt(0)
	global_atomic_cmpswap_x2 v[8:9], v2, v[3:6], s[6:7] offset:24 glc
	s_waitcnt vmcnt(0)
	buffer_wbinvl1_vol
	v_cmp_eq_u64_e32 vcc, v[8:9], v[5:6]
	s_or_b64 s[12:13], vcc, s[12:13]
	s_andn2_b64 exec, exec, s[12:13]
	s_cbranch_execnz .LBB5_588
; %bb.589:
	s_or_b64 exec, exec, s[12:13]
.LBB5_590:
	s_or_b64 exec, exec, s[10:11]
.LBB5_591:
	s_or_b64 exec, exec, s[8:9]
	v_mov_b32_e32 v3, 0
	global_load_dwordx2 v[10:11], v3, s[6:7] offset:40
	global_load_dwordx4 v[4:7], v3, s[6:7]
	v_readfirstlane_b32 s9, v9
	v_readfirstlane_b32 s8, v8
	s_mov_b64 s[10:11], exec
	s_waitcnt vmcnt(1)
	v_readfirstlane_b32 s12, v10
	v_readfirstlane_b32 s13, v11
	s_and_b64 s[12:13], s[12:13], s[8:9]
	s_mul_i32 s14, s13, 24
	s_mul_hi_u32 s15, s12, 24
	s_mul_i32 s16, s12, 24
	s_add_i32 s14, s15, s14
	v_mov_b32_e32 v2, s14
	s_waitcnt vmcnt(0)
	v_add_co_u32_e32 v8, vcc, s16, v4
	v_addc_co_u32_e32 v9, vcc, v5, v2, vcc
	s_and_saveexec_b64 s[14:15], s[2:3]
	s_cbranch_execz .LBB5_593
; %bb.592:
	v_mov_b32_e32 v10, s10
	v_mov_b32_e32 v11, s11
	v_mov_b32_e32 v12, 2
	v_mov_b32_e32 v13, 1
	global_store_dwordx4 v[8:9], v[10:13], off offset:8
.LBB5_593:
	s_or_b64 exec, exec, s[14:15]
	s_lshl_b64 s[10:11], s[12:13], 12
	v_mov_b32_e32 v2, s11
	v_add_co_u32_e32 v6, vcc, s10, v6
	v_addc_co_u32_e32 v7, vcc, v7, v2, vcc
	s_mov_b32 s12, 0
	v_cndmask_b32_e64 v2, -1, v31, s[0:1]
	s_movk_i32 s0, 0xff1f
	v_add_co_u32_e32 v10, vcc, v6, v32
	s_mov_b32 s13, s12
	s_mov_b32 s14, s12
	;; [unrolled: 1-line block ×3, first 2 shown]
	v_mov_b32_e32 v12, s12
	v_and_or_b32 v0, v0, s0, 32
	v_addc_co_u32_e32 v11, vcc, 0, v7, vcc
	v_readfirstlane_b32 s0, v6
	v_readfirstlane_b32 s1, v7
	v_mov_b32_e32 v13, s13
	v_mov_b32_e32 v14, s14
	;; [unrolled: 1-line block ×3, first 2 shown]
	s_nop 1
	global_store_dwordx4 v32, v[0:3], s[0:1]
	global_store_dwordx4 v32, v[12:15], s[0:1] offset:16
	global_store_dwordx4 v32, v[12:15], s[0:1] offset:32
	;; [unrolled: 1-line block ×3, first 2 shown]
	s_and_saveexec_b64 s[0:1], s[2:3]
	s_cbranch_execz .LBB5_601
; %bb.594:
	v_mov_b32_e32 v7, 0
	global_load_dwordx2 v[14:15], v7, s[6:7] offset:32 glc
	global_load_dwordx2 v[0:1], v7, s[6:7] offset:40
	v_mov_b32_e32 v12, s8
	v_mov_b32_e32 v13, s9
	s_waitcnt vmcnt(0)
	v_readfirstlane_b32 s10, v0
	v_readfirstlane_b32 s11, v1
	s_and_b64 s[10:11], s[10:11], s[8:9]
	s_mul_i32 s11, s11, 24
	s_mul_hi_u32 s12, s10, 24
	s_mul_i32 s10, s10, 24
	s_add_i32 s11, s12, s11
	v_mov_b32_e32 v1, s11
	v_add_co_u32_e32 v0, vcc, s10, v4
	v_addc_co_u32_e32 v1, vcc, v5, v1, vcc
	global_store_dwordx2 v[0:1], v[14:15], off
	s_waitcnt vmcnt(0)
	global_atomic_cmpswap_x2 v[5:6], v7, v[12:15], s[6:7] offset:32 glc
	s_waitcnt vmcnt(0)
	v_cmp_ne_u64_e32 vcc, v[5:6], v[14:15]
	s_and_saveexec_b64 s[10:11], vcc
	s_cbranch_execz .LBB5_597
; %bb.595:
	s_mov_b64 s[12:13], 0
.LBB5_596:                              ; =>This Inner Loop Header: Depth=1
	s_sleep 1
	global_store_dwordx2 v[0:1], v[5:6], off
	v_mov_b32_e32 v3, s8
	v_mov_b32_e32 v4, s9
	s_waitcnt vmcnt(0)
	global_atomic_cmpswap_x2 v[3:4], v7, v[3:6], s[6:7] offset:32 glc
	s_waitcnt vmcnt(0)
	v_cmp_eq_u64_e32 vcc, v[3:4], v[5:6]
	v_mov_b32_e32 v6, v4
	s_or_b64 s[12:13], vcc, s[12:13]
	v_mov_b32_e32 v5, v3
	s_andn2_b64 exec, exec, s[12:13]
	s_cbranch_execnz .LBB5_596
.LBB5_597:
	s_or_b64 exec, exec, s[10:11]
	v_mov_b32_e32 v4, 0
	global_load_dwordx2 v[0:1], v4, s[6:7] offset:16
	s_mov_b64 s[10:11], exec
	v_mbcnt_lo_u32_b32 v3, s10, 0
	v_mbcnt_hi_u32_b32 v3, s11, v3
	v_cmp_eq_u32_e32 vcc, 0, v3
	s_and_saveexec_b64 s[12:13], vcc
	s_cbranch_execz .LBB5_599
; %bb.598:
	s_bcnt1_i32_b64 s10, s[10:11]
	v_mov_b32_e32 v3, s10
	s_waitcnt vmcnt(0)
	global_atomic_add_x2 v[0:1], v[3:4], off offset:8
.LBB5_599:
	s_or_b64 exec, exec, s[12:13]
	s_waitcnt vmcnt(0)
	global_load_dwordx2 v[3:4], v[0:1], off offset:16
	s_waitcnt vmcnt(0)
	v_cmp_eq_u64_e32 vcc, 0, v[3:4]
	s_cbranch_vccnz .LBB5_601
; %bb.600:
	global_load_dword v0, v[0:1], off offset:24
	v_mov_b32_e32 v1, 0
	s_waitcnt vmcnt(0)
	v_readfirstlane_b32 s10, v0
	s_and_b32 m0, s10, 0xffffff
	global_store_dwordx2 v[3:4], v[0:1], off
	s_sendmsg sendmsg(MSG_INTERRUPT)
.LBB5_601:
	s_or_b64 exec, exec, s[0:1]
	s_branch .LBB5_605
.LBB5_602:                              ;   in Loop: Header=BB5_605 Depth=1
	s_or_b64 exec, exec, s[0:1]
	v_readfirstlane_b32 s0, v0
	s_cmp_eq_u32 s0, 0
	s_cbranch_scc1 .LBB5_604
; %bb.603:                              ;   in Loop: Header=BB5_605 Depth=1
	s_sleep 1
	s_cbranch_execnz .LBB5_605
	s_branch .LBB5_607
.LBB5_604:
	s_branch .LBB5_607
.LBB5_605:                              ; =>This Inner Loop Header: Depth=1
	v_mov_b32_e32 v0, 1
	s_and_saveexec_b64 s[0:1], s[2:3]
	s_cbranch_execz .LBB5_602
; %bb.606:                              ;   in Loop: Header=BB5_605 Depth=1
	global_load_dword v0, v[8:9], off offset:20 glc
	s_waitcnt vmcnt(0)
	buffer_wbinvl1_vol
	v_and_b32_e32 v0, 1, v0
	s_branch .LBB5_602
.LBB5_607:
	global_load_dwordx2 v[3:4], v[10:11], off
	s_and_saveexec_b64 s[0:1], s[2:3]
	s_cbranch_execz .LBB5_610
; %bb.608:
	v_mov_b32_e32 v9, 0
	global_load_dwordx2 v[0:1], v9, s[6:7] offset:40
	global_load_dwordx2 v[12:13], v9, s[6:7] offset:24 glc
	global_load_dwordx2 v[5:6], v9, s[6:7]
	s_waitcnt vmcnt(2)
	v_readfirstlane_b32 s10, v0
	v_readfirstlane_b32 s11, v1
	s_add_u32 s12, s10, 1
	s_addc_u32 s13, s11, 0
	s_add_u32 s2, s12, s8
	s_addc_u32 s3, s13, s9
	s_cmp_eq_u64 s[2:3], 0
	s_cselect_b32 s3, s13, s3
	s_cselect_b32 s2, s12, s2
	s_and_b64 s[8:9], s[2:3], s[10:11]
	s_mul_i32 s9, s9, 24
	s_mul_hi_u32 s10, s8, 24
	s_mul_i32 s8, s8, 24
	s_add_i32 s9, s10, s9
	v_mov_b32_e32 v1, s9
	s_waitcnt vmcnt(0)
	v_add_co_u32_e32 v0, vcc, s8, v5
	v_addc_co_u32_e32 v1, vcc, v6, v1, vcc
	v_mov_b32_e32 v10, s2
	global_store_dwordx2 v[0:1], v[12:13], off
	v_mov_b32_e32 v11, s3
	s_waitcnt vmcnt(0)
	global_atomic_cmpswap_x2 v[7:8], v9, v[10:13], s[6:7] offset:24 glc
	s_mov_b64 s[8:9], 0
	s_waitcnt vmcnt(0)
	v_cmp_ne_u64_e32 vcc, v[7:8], v[12:13]
	s_and_b64 exec, exec, vcc
	s_cbranch_execz .LBB5_610
.LBB5_609:                              ; =>This Inner Loop Header: Depth=1
	s_sleep 1
	global_store_dwordx2 v[0:1], v[7:8], off
	v_mov_b32_e32 v5, s2
	v_mov_b32_e32 v6, s3
	s_waitcnt vmcnt(0)
	global_atomic_cmpswap_x2 v[5:6], v9, v[5:8], s[6:7] offset:24 glc
	s_waitcnt vmcnt(0)
	v_cmp_eq_u64_e32 vcc, v[5:6], v[7:8]
	v_mov_b32_e32 v8, v6
	s_or_b64 s[8:9], vcc, s[8:9]
	v_mov_b32_e32 v7, v5
	s_andn2_b64 exec, exec, s[8:9]
	s_cbranch_execnz .LBB5_609
.LBB5_610:
	s_or_b64 exec, exec, s[0:1]
	v_readfirstlane_b32 s0, v33
	v_mov_b32_e32 v0, 0
	v_mov_b32_e32 v1, 0
	v_cmp_eq_u32_e64 s[0:1], s0, v33
	s_and_saveexec_b64 s[2:3], s[0:1]
	s_cbranch_execz .LBB5_616
; %bb.611:
	v_mov_b32_e32 v5, 0
	global_load_dwordx2 v[8:9], v5, s[6:7] offset:24 glc
	s_waitcnt vmcnt(0)
	buffer_wbinvl1_vol
	global_load_dwordx2 v[0:1], v5, s[6:7] offset:40
	global_load_dwordx2 v[6:7], v5, s[6:7]
	s_waitcnt vmcnt(1)
	v_and_b32_e32 v0, v0, v8
	v_and_b32_e32 v1, v1, v9
	v_mul_lo_u32 v1, v1, 24
	v_mul_hi_u32 v10, v0, 24
	v_mul_lo_u32 v0, v0, 24
	v_add_u32_e32 v1, v10, v1
	s_waitcnt vmcnt(0)
	v_add_co_u32_e32 v0, vcc, v6, v0
	v_addc_co_u32_e32 v1, vcc, v7, v1, vcc
	global_load_dwordx2 v[6:7], v[0:1], off glc
	s_waitcnt vmcnt(0)
	global_atomic_cmpswap_x2 v[0:1], v5, v[6:9], s[6:7] offset:24 glc
	s_waitcnt vmcnt(0)
	buffer_wbinvl1_vol
	v_cmp_ne_u64_e32 vcc, v[0:1], v[8:9]
	s_and_saveexec_b64 s[8:9], vcc
	s_cbranch_execz .LBB5_615
; %bb.612:
	s_mov_b64 s[10:11], 0
.LBB5_613:                              ; =>This Inner Loop Header: Depth=1
	s_sleep 1
	global_load_dwordx2 v[6:7], v5, s[6:7] offset:40
	global_load_dwordx2 v[10:11], v5, s[6:7]
	v_mov_b32_e32 v9, v1
	v_mov_b32_e32 v8, v0
	s_waitcnt vmcnt(1)
	v_and_b32_e32 v0, v6, v8
	s_waitcnt vmcnt(0)
	v_mad_u64_u32 v[0:1], s[12:13], v0, 24, v[10:11]
	v_and_b32_e32 v6, v7, v9
	v_mad_u64_u32 v[6:7], s[12:13], v6, 24, v[1:2]
	v_mov_b32_e32 v1, v6
	global_load_dwordx2 v[6:7], v[0:1], off glc
	s_waitcnt vmcnt(0)
	global_atomic_cmpswap_x2 v[0:1], v5, v[6:9], s[6:7] offset:24 glc
	s_waitcnt vmcnt(0)
	buffer_wbinvl1_vol
	v_cmp_eq_u64_e32 vcc, v[0:1], v[8:9]
	s_or_b64 s[10:11], vcc, s[10:11]
	s_andn2_b64 exec, exec, s[10:11]
	s_cbranch_execnz .LBB5_613
; %bb.614:
	s_or_b64 exec, exec, s[10:11]
.LBB5_615:
	s_or_b64 exec, exec, s[8:9]
.LBB5_616:
	s_or_b64 exec, exec, s[2:3]
	v_mov_b32_e32 v6, 0
	global_load_dwordx2 v[11:12], v6, s[6:7] offset:40
	global_load_dwordx4 v[7:10], v6, s[6:7]
	v_readfirstlane_b32 s3, v1
	v_readfirstlane_b32 s2, v0
	s_mov_b64 s[8:9], exec
	s_waitcnt vmcnt(1)
	v_readfirstlane_b32 s10, v11
	v_readfirstlane_b32 s11, v12
	s_and_b64 s[10:11], s[10:11], s[2:3]
	s_mul_i32 s12, s11, 24
	s_mul_hi_u32 s13, s10, 24
	s_mul_i32 s14, s10, 24
	s_add_i32 s12, s13, s12
	v_mov_b32_e32 v1, s12
	s_waitcnt vmcnt(0)
	v_add_co_u32_e32 v0, vcc, s14, v7
	v_addc_co_u32_e32 v1, vcc, v8, v1, vcc
	s_and_saveexec_b64 s[12:13], s[0:1]
	s_cbranch_execz .LBB5_618
; %bb.617:
	v_mov_b32_e32 v12, s9
	v_mov_b32_e32 v11, s8
	;; [unrolled: 1-line block ×4, first 2 shown]
	global_store_dwordx4 v[0:1], v[11:14], off offset:8
.LBB5_618:
	s_or_b64 exec, exec, s[12:13]
	s_lshl_b64 s[8:9], s[10:11], 12
	v_mov_b32_e32 v5, s9
	v_add_co_u32_e32 v9, vcc, s8, v9
	s_movk_i32 s8, 0xff1f
	v_addc_co_u32_e32 v12, vcc, v10, v5, vcc
	v_and_or_b32 v3, v3, s8, 32
	s_mov_b32 s8, 0
	v_add_co_u32_e32 v10, vcc, v9, v32
	s_mov_b32 s11, s8
	v_addc_co_u32_e32 v11, vcc, 0, v12, vcc
	v_readfirstlane_b32 s13, v12
	s_mov_b32 s9, s8
	s_mov_b32 s10, s8
	v_mov_b32_e32 v15, s11
	v_lshrrev_b32_e32 v5, 4, v26
	v_readfirstlane_b32 s12, v9
	v_mov_b32_e32 v14, s10
	v_mov_b32_e32 v13, s9
	;; [unrolled: 1-line block ×3, first 2 shown]
	s_nop 1
	global_store_dwordx4 v32, v[3:6], s[12:13]
	global_store_dwordx4 v32, v[12:15], s[12:13] offset:16
	global_store_dwordx4 v32, v[12:15], s[12:13] offset:32
	;; [unrolled: 1-line block ×3, first 2 shown]
	s_and_saveexec_b64 s[8:9], s[0:1]
	s_cbranch_execz .LBB5_626
; %bb.619:
	v_mov_b32_e32 v12, 0
	global_load_dwordx2 v[15:16], v12, s[6:7] offset:32 glc
	global_load_dwordx2 v[3:4], v12, s[6:7] offset:40
	v_mov_b32_e32 v13, s2
	v_mov_b32_e32 v14, s3
	s_waitcnt vmcnt(0)
	v_readfirstlane_b32 s10, v3
	v_readfirstlane_b32 s11, v4
	s_and_b64 s[10:11], s[10:11], s[2:3]
	s_mul_i32 s11, s11, 24
	s_mul_hi_u32 s12, s10, 24
	s_mul_i32 s10, s10, 24
	s_add_i32 s11, s12, s11
	v_mov_b32_e32 v4, s11
	v_add_co_u32_e32 v3, vcc, s10, v7
	v_addc_co_u32_e32 v4, vcc, v8, v4, vcc
	global_store_dwordx2 v[3:4], v[15:16], off
	s_waitcnt vmcnt(0)
	global_atomic_cmpswap_x2 v[8:9], v12, v[13:16], s[6:7] offset:32 glc
	s_waitcnt vmcnt(0)
	v_cmp_ne_u64_e32 vcc, v[8:9], v[15:16]
	s_and_saveexec_b64 s[10:11], vcc
	s_cbranch_execz .LBB5_622
; %bb.620:
	s_mov_b64 s[12:13], 0
.LBB5_621:                              ; =>This Inner Loop Header: Depth=1
	s_sleep 1
	global_store_dwordx2 v[3:4], v[8:9], off
	v_mov_b32_e32 v6, s2
	v_mov_b32_e32 v7, s3
	s_waitcnt vmcnt(0)
	global_atomic_cmpswap_x2 v[6:7], v12, v[6:9], s[6:7] offset:32 glc
	s_waitcnt vmcnt(0)
	v_cmp_eq_u64_e32 vcc, v[6:7], v[8:9]
	v_mov_b32_e32 v9, v7
	s_or_b64 s[12:13], vcc, s[12:13]
	v_mov_b32_e32 v8, v6
	s_andn2_b64 exec, exec, s[12:13]
	s_cbranch_execnz .LBB5_621
.LBB5_622:
	s_or_b64 exec, exec, s[10:11]
	v_mov_b32_e32 v7, 0
	global_load_dwordx2 v[3:4], v7, s[6:7] offset:16
	s_mov_b64 s[10:11], exec
	v_mbcnt_lo_u32_b32 v6, s10, 0
	v_mbcnt_hi_u32_b32 v6, s11, v6
	v_cmp_eq_u32_e32 vcc, 0, v6
	s_and_saveexec_b64 s[12:13], vcc
	s_cbranch_execz .LBB5_624
; %bb.623:
	s_bcnt1_i32_b64 s10, s[10:11]
	v_mov_b32_e32 v6, s10
	s_waitcnt vmcnt(0)
	global_atomic_add_x2 v[3:4], v[6:7], off offset:8
.LBB5_624:
	s_or_b64 exec, exec, s[12:13]
	s_waitcnt vmcnt(0)
	global_load_dwordx2 v[6:7], v[3:4], off offset:16
	s_waitcnt vmcnt(0)
	v_cmp_eq_u64_e32 vcc, 0, v[6:7]
	s_cbranch_vccnz .LBB5_626
; %bb.625:
	global_load_dword v3, v[3:4], off offset:24
	v_mov_b32_e32 v4, 0
	s_waitcnt vmcnt(0)
	v_readfirstlane_b32 s10, v3
	s_and_b32 m0, s10, 0xffffff
	global_store_dwordx2 v[6:7], v[3:4], off
	s_sendmsg sendmsg(MSG_INTERRUPT)
.LBB5_626:
	s_or_b64 exec, exec, s[8:9]
	s_branch .LBB5_630
.LBB5_627:                              ;   in Loop: Header=BB5_630 Depth=1
	s_or_b64 exec, exec, s[8:9]
	v_readfirstlane_b32 s8, v3
	s_cmp_eq_u32 s8, 0
	s_cbranch_scc1 .LBB5_629
; %bb.628:                              ;   in Loop: Header=BB5_630 Depth=1
	s_sleep 1
	s_cbranch_execnz .LBB5_630
	s_branch .LBB5_632
.LBB5_629:
	s_branch .LBB5_632
.LBB5_630:                              ; =>This Inner Loop Header: Depth=1
	v_mov_b32_e32 v3, 1
	s_and_saveexec_b64 s[8:9], s[0:1]
	s_cbranch_execz .LBB5_627
; %bb.631:                              ;   in Loop: Header=BB5_630 Depth=1
	global_load_dword v3, v[0:1], off offset:20 glc
	s_waitcnt vmcnt(0)
	buffer_wbinvl1_vol
	v_and_b32_e32 v3, 1, v3
	s_branch .LBB5_627
.LBB5_632:
	global_load_dwordx2 v[6:7], v[10:11], off
	s_and_saveexec_b64 s[8:9], s[0:1]
	s_cbranch_execz .LBB5_635
; %bb.633:
	v_mov_b32_e32 v3, 0
	global_load_dwordx2 v[0:1], v3, s[6:7] offset:40
	global_load_dwordx2 v[12:13], v3, s[6:7] offset:24 glc
	global_load_dwordx2 v[8:9], v3, s[6:7]
	s_waitcnt vmcnt(2)
	v_readfirstlane_b32 s10, v0
	v_readfirstlane_b32 s11, v1
	s_add_u32 s12, s10, 1
	s_addc_u32 s13, s11, 0
	s_add_u32 s0, s12, s2
	s_addc_u32 s1, s13, s3
	s_cmp_eq_u64 s[0:1], 0
	s_cselect_b32 s1, s13, s1
	s_cselect_b32 s0, s12, s0
	s_and_b64 s[2:3], s[0:1], s[10:11]
	s_mul_i32 s3, s3, 24
	s_mul_hi_u32 s10, s2, 24
	s_mul_i32 s2, s2, 24
	s_add_i32 s3, s10, s3
	v_mov_b32_e32 v1, s3
	s_waitcnt vmcnt(0)
	v_add_co_u32_e32 v0, vcc, s2, v8
	v_addc_co_u32_e32 v1, vcc, v9, v1, vcc
	v_mov_b32_e32 v10, s0
	global_store_dwordx2 v[0:1], v[12:13], off
	v_mov_b32_e32 v11, s1
	s_waitcnt vmcnt(0)
	global_atomic_cmpswap_x2 v[10:11], v3, v[10:13], s[6:7] offset:24 glc
	s_mov_b64 s[2:3], 0
	s_waitcnt vmcnt(0)
	v_cmp_ne_u64_e32 vcc, v[10:11], v[12:13]
	s_and_b64 exec, exec, vcc
	s_cbranch_execz .LBB5_635
.LBB5_634:                              ; =>This Inner Loop Header: Depth=1
	s_sleep 1
	global_store_dwordx2 v[0:1], v[10:11], off
	v_mov_b32_e32 v8, s0
	v_mov_b32_e32 v9, s1
	s_waitcnt vmcnt(0)
	global_atomic_cmpswap_x2 v[8:9], v3, v[8:11], s[6:7] offset:24 glc
	s_waitcnt vmcnt(0)
	v_cmp_eq_u64_e32 vcc, v[8:9], v[10:11]
	v_mov_b32_e32 v11, v9
	s_or_b64 s[2:3], vcc, s[2:3]
	v_mov_b32_e32 v10, v8
	s_andn2_b64 exec, exec, s[2:3]
	s_cbranch_execnz .LBB5_634
.LBB5_635:
	s_or_b64 exec, exec, s[8:9]
	v_readfirstlane_b32 s0, v33
	v_mov_b32_e32 v0, 0
	v_mov_b32_e32 v1, 0
	v_cmp_eq_u32_e64 s[0:1], s0, v33
	s_and_saveexec_b64 s[2:3], s[0:1]
	s_cbranch_execz .LBB5_641
; %bb.636:
	v_mov_b32_e32 v3, 0
	global_load_dwordx2 v[10:11], v3, s[6:7] offset:24 glc
	s_waitcnt vmcnt(0)
	buffer_wbinvl1_vol
	global_load_dwordx2 v[0:1], v3, s[6:7] offset:40
	global_load_dwordx2 v[8:9], v3, s[6:7]
	s_waitcnt vmcnt(1)
	v_and_b32_e32 v0, v0, v10
	v_and_b32_e32 v1, v1, v11
	v_mul_lo_u32 v1, v1, 24
	v_mul_hi_u32 v4, v0, 24
	v_mul_lo_u32 v0, v0, 24
	v_add_u32_e32 v1, v4, v1
	s_waitcnt vmcnt(0)
	v_add_co_u32_e32 v0, vcc, v8, v0
	v_addc_co_u32_e32 v1, vcc, v9, v1, vcc
	global_load_dwordx2 v[8:9], v[0:1], off glc
	s_waitcnt vmcnt(0)
	global_atomic_cmpswap_x2 v[0:1], v3, v[8:11], s[6:7] offset:24 glc
	s_waitcnt vmcnt(0)
	buffer_wbinvl1_vol
	v_cmp_ne_u64_e32 vcc, v[0:1], v[10:11]
	s_and_saveexec_b64 s[8:9], vcc
	s_cbranch_execz .LBB5_640
; %bb.637:
	s_mov_b64 s[10:11], 0
.LBB5_638:                              ; =>This Inner Loop Header: Depth=1
	s_sleep 1
	global_load_dwordx2 v[8:9], v3, s[6:7] offset:40
	global_load_dwordx2 v[12:13], v3, s[6:7]
	v_mov_b32_e32 v11, v1
	v_mov_b32_e32 v10, v0
	s_waitcnt vmcnt(1)
	v_and_b32_e32 v0, v8, v10
	s_waitcnt vmcnt(0)
	v_mad_u64_u32 v[0:1], s[12:13], v0, 24, v[12:13]
	v_and_b32_e32 v4, v9, v11
	v_mad_u64_u32 v[8:9], s[12:13], v4, 24, v[1:2]
	v_mov_b32_e32 v1, v8
	global_load_dwordx2 v[8:9], v[0:1], off glc
	s_waitcnt vmcnt(0)
	global_atomic_cmpswap_x2 v[0:1], v3, v[8:11], s[6:7] offset:24 glc
	s_waitcnt vmcnt(0)
	buffer_wbinvl1_vol
	v_cmp_eq_u64_e32 vcc, v[0:1], v[10:11]
	s_or_b64 s[10:11], vcc, s[10:11]
	s_andn2_b64 exec, exec, s[10:11]
	s_cbranch_execnz .LBB5_638
; %bb.639:
	s_or_b64 exec, exec, s[10:11]
.LBB5_640:
	s_or_b64 exec, exec, s[8:9]
.LBB5_641:
	s_or_b64 exec, exec, s[2:3]
	v_mov_b32_e32 v9, 0
	global_load_dwordx2 v[3:4], v9, s[6:7] offset:40
	global_load_dwordx4 v[10:13], v9, s[6:7]
	v_readfirstlane_b32 s3, v1
	v_readfirstlane_b32 s2, v0
	s_mov_b64 s[8:9], exec
	s_waitcnt vmcnt(1)
	v_readfirstlane_b32 s10, v3
	v_readfirstlane_b32 s11, v4
	s_and_b64 s[10:11], s[10:11], s[2:3]
	s_mul_i32 s12, s11, 24
	s_mul_hi_u32 s13, s10, 24
	s_mul_i32 s14, s10, 24
	s_add_i32 s12, s13, s12
	v_mov_b32_e32 v1, s12
	s_waitcnt vmcnt(0)
	v_add_co_u32_e32 v0, vcc, s14, v10
	v_addc_co_u32_e32 v1, vcc, v11, v1, vcc
	s_and_saveexec_b64 s[12:13], s[0:1]
	s_cbranch_execz .LBB5_643
; %bb.642:
	v_mov_b32_e32 v15, s9
	v_mov_b32_e32 v14, s8
	;; [unrolled: 1-line block ×4, first 2 shown]
	global_store_dwordx4 v[0:1], v[14:17], off offset:8
.LBB5_643:
	s_or_b64 exec, exec, s[12:13]
	s_lshl_b64 s[8:9], s[10:11], 12
	v_mov_b32_e32 v3, s9
	v_add_co_u32_e32 v4, vcc, s8, v12
	s_add_i32 s26, s26, 15
	v_addc_co_u32_e32 v3, vcc, v13, v3, vcc
	s_lshr_b32 s9, s26, 4
	s_movk_i32 s10, 0xff1d
	s_mov_b32 s8, 0
	v_and_or_b32 v6, v6, s10, 34
	v_mov_b32_e32 v8, s9
	v_readfirstlane_b32 s12, v4
	v_readfirstlane_b32 s13, v3
	s_mov_b32 s9, s8
	s_mov_b32 s10, s8
	;; [unrolled: 1-line block ×3, first 2 shown]
	s_nop 1
	global_store_dwordx4 v32, v[6:9], s[12:13]
	s_nop 0
	v_mov_b32_e32 v6, s8
	v_mov_b32_e32 v7, s9
	;; [unrolled: 1-line block ×4, first 2 shown]
	global_store_dwordx4 v32, v[6:9], s[12:13] offset:16
	global_store_dwordx4 v32, v[6:9], s[12:13] offset:32
	;; [unrolled: 1-line block ×3, first 2 shown]
	s_and_saveexec_b64 s[8:9], s[0:1]
	s_cbranch_execz .LBB5_651
; %bb.644:
	v_mov_b32_e32 v12, 0
	global_load_dwordx2 v[15:16], v12, s[6:7] offset:32 glc
	global_load_dwordx2 v[3:4], v12, s[6:7] offset:40
	v_mov_b32_e32 v13, s2
	v_mov_b32_e32 v14, s3
	s_waitcnt vmcnt(0)
	v_readfirstlane_b32 s10, v3
	v_readfirstlane_b32 s11, v4
	s_and_b64 s[10:11], s[10:11], s[2:3]
	s_mul_i32 s11, s11, 24
	s_mul_hi_u32 s12, s10, 24
	s_mul_i32 s10, s10, 24
	s_add_i32 s11, s12, s11
	v_mov_b32_e32 v4, s11
	v_add_co_u32_e32 v3, vcc, s10, v10
	v_addc_co_u32_e32 v4, vcc, v11, v4, vcc
	global_store_dwordx2 v[3:4], v[15:16], off
	s_waitcnt vmcnt(0)
	global_atomic_cmpswap_x2 v[8:9], v12, v[13:16], s[6:7] offset:32 glc
	s_waitcnt vmcnt(0)
	v_cmp_ne_u64_e32 vcc, v[8:9], v[15:16]
	s_and_saveexec_b64 s[10:11], vcc
	s_cbranch_execz .LBB5_647
; %bb.645:
	s_mov_b64 s[12:13], 0
.LBB5_646:                              ; =>This Inner Loop Header: Depth=1
	s_sleep 1
	global_store_dwordx2 v[3:4], v[8:9], off
	v_mov_b32_e32 v6, s2
	v_mov_b32_e32 v7, s3
	s_waitcnt vmcnt(0)
	global_atomic_cmpswap_x2 v[6:7], v12, v[6:9], s[6:7] offset:32 glc
	s_waitcnt vmcnt(0)
	v_cmp_eq_u64_e32 vcc, v[6:7], v[8:9]
	v_mov_b32_e32 v9, v7
	s_or_b64 s[12:13], vcc, s[12:13]
	v_mov_b32_e32 v8, v6
	s_andn2_b64 exec, exec, s[12:13]
	s_cbranch_execnz .LBB5_646
.LBB5_647:
	s_or_b64 exec, exec, s[10:11]
	v_mov_b32_e32 v7, 0
	global_load_dwordx2 v[3:4], v7, s[6:7] offset:16
	s_mov_b64 s[10:11], exec
	v_mbcnt_lo_u32_b32 v6, s10, 0
	v_mbcnt_hi_u32_b32 v6, s11, v6
	v_cmp_eq_u32_e32 vcc, 0, v6
	s_and_saveexec_b64 s[12:13], vcc
	s_cbranch_execz .LBB5_649
; %bb.648:
	s_bcnt1_i32_b64 s10, s[10:11]
	v_mov_b32_e32 v6, s10
	s_waitcnt vmcnt(0)
	global_atomic_add_x2 v[3:4], v[6:7], off offset:8
.LBB5_649:
	s_or_b64 exec, exec, s[12:13]
	s_waitcnt vmcnt(0)
	global_load_dwordx2 v[6:7], v[3:4], off offset:16
	s_waitcnt vmcnt(0)
	v_cmp_eq_u64_e32 vcc, 0, v[6:7]
	s_cbranch_vccnz .LBB5_651
; %bb.650:
	global_load_dword v3, v[3:4], off offset:24
	v_mov_b32_e32 v4, 0
	s_waitcnt vmcnt(0)
	v_readfirstlane_b32 s10, v3
	s_and_b32 m0, s10, 0xffffff
	global_store_dwordx2 v[6:7], v[3:4], off
	s_sendmsg sendmsg(MSG_INTERRUPT)
.LBB5_651:
	s_or_b64 exec, exec, s[8:9]
	s_branch .LBB5_655
.LBB5_652:                              ;   in Loop: Header=BB5_655 Depth=1
	s_or_b64 exec, exec, s[8:9]
	v_readfirstlane_b32 s8, v3
	s_cmp_eq_u32 s8, 0
	s_cbranch_scc1 .LBB5_654
; %bb.653:                              ;   in Loop: Header=BB5_655 Depth=1
	s_sleep 1
	s_cbranch_execnz .LBB5_655
	s_branch .LBB5_657
.LBB5_654:
	s_branch .LBB5_657
.LBB5_655:                              ; =>This Inner Loop Header: Depth=1
	v_mov_b32_e32 v3, 1
	s_and_saveexec_b64 s[8:9], s[0:1]
	s_cbranch_execz .LBB5_652
; %bb.656:                              ;   in Loop: Header=BB5_655 Depth=1
	global_load_dword v3, v[0:1], off offset:20 glc
	s_waitcnt vmcnt(0)
	buffer_wbinvl1_vol
	v_and_b32_e32 v3, 1, v3
	s_branch .LBB5_652
.LBB5_657:
	s_and_saveexec_b64 s[8:9], s[0:1]
	s_cbranch_execz .LBB5_660
; %bb.658:
	v_mov_b32_e32 v3, 0
	global_load_dwordx2 v[0:1], v3, s[6:7] offset:40
	global_load_dwordx2 v[10:11], v3, s[6:7] offset:24 glc
	global_load_dwordx2 v[6:7], v3, s[6:7]
	s_waitcnt vmcnt(2)
	v_readfirstlane_b32 s10, v0
	v_readfirstlane_b32 s11, v1
	s_add_u32 s12, s10, 1
	s_addc_u32 s13, s11, 0
	s_add_u32 s0, s12, s2
	s_addc_u32 s1, s13, s3
	s_cmp_eq_u64 s[0:1], 0
	s_cselect_b32 s1, s13, s1
	s_cselect_b32 s0, s12, s0
	s_and_b64 s[2:3], s[0:1], s[10:11]
	s_mul_i32 s3, s3, 24
	s_mul_hi_u32 s10, s2, 24
	s_mul_i32 s2, s2, 24
	s_add_i32 s3, s10, s3
	v_mov_b32_e32 v1, s3
	s_waitcnt vmcnt(0)
	v_add_co_u32_e32 v0, vcc, s2, v6
	v_addc_co_u32_e32 v1, vcc, v7, v1, vcc
	v_mov_b32_e32 v8, s0
	global_store_dwordx2 v[0:1], v[10:11], off
	v_mov_b32_e32 v9, s1
	s_waitcnt vmcnt(0)
	global_atomic_cmpswap_x2 v[8:9], v3, v[8:11], s[6:7] offset:24 glc
	s_mov_b64 s[2:3], 0
	s_waitcnt vmcnt(0)
	v_cmp_ne_u64_e32 vcc, v[8:9], v[10:11]
	s_and_b64 exec, exec, vcc
	s_cbranch_execz .LBB5_660
.LBB5_659:                              ; =>This Inner Loop Header: Depth=1
	s_sleep 1
	global_store_dwordx2 v[0:1], v[8:9], off
	v_mov_b32_e32 v6, s0
	v_mov_b32_e32 v7, s1
	s_waitcnt vmcnt(0)
	global_atomic_cmpswap_x2 v[6:7], v3, v[6:9], s[6:7] offset:24 glc
	s_waitcnt vmcnt(0)
	v_cmp_eq_u64_e32 vcc, v[6:7], v[8:9]
	v_mov_b32_e32 v9, v7
	s_or_b64 s[2:3], vcc, s[2:3]
	v_mov_b32_e32 v8, v6
	s_andn2_b64 exec, exec, s[2:3]
	s_cbranch_execnz .LBB5_659
.LBB5_660:
	s_or_b64 exec, exec, s[8:9]
	s_load_dwordx2 s[0:1], s[4:5], 0x0
	v_lshlrev_b32_e32 v0, 2, v5
	s_waitcnt lgkmcnt(0)
	global_store_dword v0, v2, s[0:1]
	s_endpgm
	.section	.rodata,"a",@progbits
	.p2align	6, 0x0
	.amdhsa_kernel _Z32kernel_cg_group_partition_staticILj16EEvPibS0_
		.amdhsa_group_segment_fixed_size 0
		.amdhsa_private_segment_fixed_size 0
		.amdhsa_kernarg_size 280
		.amdhsa_user_sgpr_count 6
		.amdhsa_user_sgpr_private_segment_buffer 1
		.amdhsa_user_sgpr_dispatch_ptr 0
		.amdhsa_user_sgpr_queue_ptr 0
		.amdhsa_user_sgpr_kernarg_segment_ptr 1
		.amdhsa_user_sgpr_dispatch_id 0
		.amdhsa_user_sgpr_flat_scratch_init 0
		.amdhsa_user_sgpr_private_segment_size 0
		.amdhsa_uses_dynamic_stack 0
		.amdhsa_system_sgpr_private_segment_wavefront_offset 0
		.amdhsa_system_sgpr_workgroup_id_x 1
		.amdhsa_system_sgpr_workgroup_id_y 0
		.amdhsa_system_sgpr_workgroup_id_z 0
		.amdhsa_system_sgpr_workgroup_info 0
		.amdhsa_system_vgpr_workitem_id 2
		.amdhsa_next_free_vgpr 36
		.amdhsa_next_free_sgpr 30
		.amdhsa_reserve_vcc 1
		.amdhsa_reserve_flat_scratch 0
		.amdhsa_float_round_mode_32 0
		.amdhsa_float_round_mode_16_64 0
		.amdhsa_float_denorm_mode_32 3
		.amdhsa_float_denorm_mode_16_64 3
		.amdhsa_dx10_clamp 1
		.amdhsa_ieee_mode 1
		.amdhsa_fp16_overflow 0
		.amdhsa_exception_fp_ieee_invalid_op 0
		.amdhsa_exception_fp_denorm_src 0
		.amdhsa_exception_fp_ieee_div_zero 0
		.amdhsa_exception_fp_ieee_overflow 0
		.amdhsa_exception_fp_ieee_underflow 0
		.amdhsa_exception_fp_ieee_inexact 0
		.amdhsa_exception_int_div_zero 0
	.end_amdhsa_kernel
	.section	.text._Z32kernel_cg_group_partition_staticILj16EEvPibS0_,"axG",@progbits,_Z32kernel_cg_group_partition_staticILj16EEvPibS0_,comdat
.Lfunc_end5:
	.size	_Z32kernel_cg_group_partition_staticILj16EEvPibS0_, .Lfunc_end5-_Z32kernel_cg_group_partition_staticILj16EEvPibS0_
                                        ; -- End function
	.set _Z32kernel_cg_group_partition_staticILj16EEvPibS0_.num_vgpr, 36
	.set _Z32kernel_cg_group_partition_staticILj16EEvPibS0_.num_agpr, 0
	.set _Z32kernel_cg_group_partition_staticILj16EEvPibS0_.numbered_sgpr, 30
	.set _Z32kernel_cg_group_partition_staticILj16EEvPibS0_.num_named_barrier, 0
	.set _Z32kernel_cg_group_partition_staticILj16EEvPibS0_.private_seg_size, 0
	.set _Z32kernel_cg_group_partition_staticILj16EEvPibS0_.uses_vcc, 1
	.set _Z32kernel_cg_group_partition_staticILj16EEvPibS0_.uses_flat_scratch, 0
	.set _Z32kernel_cg_group_partition_staticILj16EEvPibS0_.has_dyn_sized_stack, 0
	.set _Z32kernel_cg_group_partition_staticILj16EEvPibS0_.has_recursion, 0
	.set _Z32kernel_cg_group_partition_staticILj16EEvPibS0_.has_indirect_call, 0
	.section	.AMDGPU.csdata,"",@progbits
; Kernel info:
; codeLenInByte = 25004
; TotalNumSgprs: 34
; NumVgprs: 36
; ScratchSize: 0
; MemoryBound: 0
; FloatMode: 240
; IeeeMode: 1
; LDSByteSize: 0 bytes/workgroup (compile time only)
; SGPRBlocks: 4
; VGPRBlocks: 8
; NumSGPRsForWavesPerEU: 34
; NumVGPRsForWavesPerEU: 36
; Occupancy: 7
; WaveLimiterHint : 1
; COMPUTE_PGM_RSRC2:SCRATCH_EN: 0
; COMPUTE_PGM_RSRC2:USER_SGPR: 6
; COMPUTE_PGM_RSRC2:TRAP_HANDLER: 0
; COMPUTE_PGM_RSRC2:TGID_X_EN: 1
; COMPUTE_PGM_RSRC2:TGID_Y_EN: 0
; COMPUTE_PGM_RSRC2:TGID_Z_EN: 0
; COMPUTE_PGM_RSRC2:TIDIG_COMP_CNT: 2
	.section	.text._Z32kernel_cg_group_partition_staticILj32EEvPibS0_,"axG",@progbits,_Z32kernel_cg_group_partition_staticILj32EEvPibS0_,comdat
	.protected	_Z32kernel_cg_group_partition_staticILj32EEvPibS0_ ; -- Begin function _Z32kernel_cg_group_partition_staticILj32EEvPibS0_
	.globl	_Z32kernel_cg_group_partition_staticILj32EEvPibS0_
	.p2align	8
	.type	_Z32kernel_cg_group_partition_staticILj32EEvPibS0_,@function
_Z32kernel_cg_group_partition_staticILj32EEvPibS0_: ; @_Z32kernel_cg_group_partition_staticILj32EEvPibS0_
; %bb.0:
	s_mov_b64 s[2:3], src_shared_base
	s_load_dword s2, s[4:5], 0x8
	s_load_dwordx2 s[0:1], s[4:5], 0x24
	s_load_dwordx2 s[8:9], s[4:5], 0x10
	s_waitcnt lgkmcnt(0)
	s_and_b32 s2, 1, s2
	s_add_u32 s6, s4, 24
	s_addc_u32 s7, s5, 0
	s_and_b32 s10, s1, 0xffff
	s_lshr_b32 s11, s0, 16
	s_and_b32 s0, s0, 0xffff
	s_cmp_lg_u32 0, -1
	v_mad_u32_u24 v1, v2, s11, v1
	s_cselect_b32 s12, 0, 0
	s_cselect_b32 s13, s3, 0
	s_cmp_eq_u32 s2, 1
	v_mad_u64_u32 v[26:27], s[2:3], v1, s0, v[0:1]
	s_mul_i32 s26, s11, s0
	s_mul_i32 s26, s26, s10
	s_mov_b32 s1, 0
	s_cselect_b32 s27, s9, s13
	s_cselect_b32 s28, s8, s12
	v_mov_b32_e32 v31, v26
	s_cmp_lt_u32 s26, 2
	v_mov_b32_e32 v34, v26
	s_cbranch_scc1 .LBB6_6
; %bb.1:
	v_ashrrev_i32_e32 v27, 31, v26
	v_lshlrev_b64 v[0:1], 2, v[26:27]
	v_mov_b32_e32 v2, s27
	v_add_co_u32_e32 v0, vcc, s28, v0
	v_addc_co_u32_e32 v1, vcc, v2, v1, vcc
	s_mov_b32 s8, s26
	v_mov_b32_e32 v34, v31
.LBB6_2:                                ; =>This Inner Loop Header: Depth=1
	s_lshr_b32 s0, s8, 1
	v_cmp_gt_i32_e32 vcc, s0, v26
	flat_store_dword v[0:1], v34
	s_waitcnt vmcnt(0) lgkmcnt(0)
	s_barrier
	s_and_saveexec_b64 s[2:3], vcc
	s_cbranch_execz .LBB6_4
; %bb.3:                                ;   in Loop: Header=BB6_2 Depth=1
	s_lshl_b64 s[10:11], s[0:1], 2
	v_mov_b32_e32 v3, s11
	v_add_co_u32_e32 v2, vcc, s10, v0
	v_addc_co_u32_e32 v3, vcc, v1, v3, vcc
	flat_load_dword v2, v[2:3]
	s_waitcnt vmcnt(0) lgkmcnt(0)
	v_add_u32_e32 v34, v2, v34
.LBB6_4:                                ;   in Loop: Header=BB6_2 Depth=1
	s_or_b64 exec, exec, s[2:3]
	s_cmp_gt_u32 s8, 3
	s_barrier
	s_cbranch_scc0 .LBB6_6
; %bb.5:                                ;   in Loop: Header=BB6_2 Depth=1
	s_mov_b32 s8, s0
	s_branch .LBB6_2
.LBB6_6:
	v_cmp_eq_u32_e64 s[0:1], 0, v26
	s_and_saveexec_b64 s[8:9], s[0:1]
	s_cbranch_execz .LBB6_408
; %bb.7:
	s_load_dwordx2 s[10:11], s[6:7], 0x50
	v_mbcnt_lo_u32_b32 v0, -1, 0
	v_mbcnt_hi_u32_b32 v33, -1, v0
	v_readfirstlane_b32 s2, v33
	v_mov_b32_e32 v5, 0
	v_mov_b32_e32 v6, 0
	v_cmp_eq_u32_e64 s[2:3], s2, v33
	s_and_saveexec_b64 s[12:13], s[2:3]
	s_cbranch_execz .LBB6_13
; %bb.8:
	v_mov_b32_e32 v0, 0
	s_waitcnt lgkmcnt(0)
	global_load_dwordx2 v[3:4], v0, s[10:11] offset:24 glc
	s_waitcnt vmcnt(0)
	buffer_wbinvl1_vol
	global_load_dwordx2 v[1:2], v0, s[10:11] offset:40
	global_load_dwordx2 v[5:6], v0, s[10:11]
	s_waitcnt vmcnt(1)
	v_and_b32_e32 v1, v1, v3
	v_and_b32_e32 v2, v2, v4
	v_mul_lo_u32 v2, v2, 24
	v_mul_hi_u32 v7, v1, 24
	v_mul_lo_u32 v1, v1, 24
	v_add_u32_e32 v2, v7, v2
	s_waitcnt vmcnt(0)
	v_add_co_u32_e32 v1, vcc, v5, v1
	v_addc_co_u32_e32 v2, vcc, v6, v2, vcc
	global_load_dwordx2 v[1:2], v[1:2], off glc
	s_waitcnt vmcnt(0)
	global_atomic_cmpswap_x2 v[5:6], v0, v[1:4], s[10:11] offset:24 glc
	s_waitcnt vmcnt(0)
	buffer_wbinvl1_vol
	v_cmp_ne_u64_e32 vcc, v[5:6], v[3:4]
	s_and_saveexec_b64 s[14:15], vcc
	s_cbranch_execz .LBB6_12
; %bb.9:
	s_mov_b64 s[16:17], 0
.LBB6_10:                               ; =>This Inner Loop Header: Depth=1
	s_sleep 1
	global_load_dwordx2 v[1:2], v0, s[10:11] offset:40
	global_load_dwordx2 v[7:8], v0, s[10:11]
	v_mov_b32_e32 v3, v5
	v_mov_b32_e32 v4, v6
	s_waitcnt vmcnt(1)
	v_and_b32_e32 v1, v1, v3
	s_waitcnt vmcnt(0)
	v_mad_u64_u32 v[5:6], s[18:19], v1, 24, v[7:8]
	v_and_b32_e32 v2, v2, v4
	v_mov_b32_e32 v1, v6
	v_mad_u64_u32 v[1:2], s[18:19], v2, 24, v[1:2]
	v_mov_b32_e32 v6, v1
	global_load_dwordx2 v[1:2], v[5:6], off glc
	s_waitcnt vmcnt(0)
	global_atomic_cmpswap_x2 v[5:6], v0, v[1:4], s[10:11] offset:24 glc
	s_waitcnt vmcnt(0)
	buffer_wbinvl1_vol
	v_cmp_eq_u64_e32 vcc, v[5:6], v[3:4]
	s_or_b64 s[16:17], vcc, s[16:17]
	s_andn2_b64 exec, exec, s[16:17]
	s_cbranch_execnz .LBB6_10
; %bb.11:
	s_or_b64 exec, exec, s[16:17]
.LBB6_12:
	s_or_b64 exec, exec, s[14:15]
.LBB6_13:
	s_or_b64 exec, exec, s[12:13]
	v_mov_b32_e32 v4, 0
	s_waitcnt lgkmcnt(0)
	global_load_dwordx2 v[7:8], v4, s[10:11] offset:40
	global_load_dwordx4 v[0:3], v4, s[10:11]
	v_readfirstlane_b32 s13, v6
	v_readfirstlane_b32 s12, v5
	s_mov_b64 s[14:15], exec
	s_waitcnt vmcnt(1)
	v_readfirstlane_b32 s16, v7
	v_readfirstlane_b32 s17, v8
	s_and_b64 s[16:17], s[16:17], s[12:13]
	s_mul_i32 s18, s17, 24
	s_mul_hi_u32 s19, s16, 24
	s_mul_i32 s20, s16, 24
	s_add_i32 s18, s19, s18
	v_mov_b32_e32 v5, s18
	s_waitcnt vmcnt(0)
	v_add_co_u32_e32 v7, vcc, s20, v0
	v_addc_co_u32_e32 v8, vcc, v1, v5, vcc
	s_and_saveexec_b64 s[18:19], s[2:3]
	s_cbranch_execz .LBB6_15
; %bb.14:
	v_mov_b32_e32 v9, s14
	v_mov_b32_e32 v10, s15
	;; [unrolled: 1-line block ×4, first 2 shown]
	global_store_dwordx4 v[7:8], v[9:12], off offset:8
.LBB6_15:
	s_or_b64 exec, exec, s[18:19]
	s_lshl_b64 s[14:15], s[16:17], 12
	v_mov_b32_e32 v5, s15
	v_add_co_u32_e32 v2, vcc, s14, v2
	v_addc_co_u32_e32 v11, vcc, v3, v5, vcc
	v_lshlrev_b32_e32 v32, 6, v33
	s_mov_b32 s16, 0
	v_mov_b32_e32 v3, 33
	v_mov_b32_e32 v5, v4
	;; [unrolled: 1-line block ×3, first 2 shown]
	v_readfirstlane_b32 s14, v2
	v_readfirstlane_b32 s15, v11
	v_add_co_u32_e32 v9, vcc, v2, v32
	s_mov_b32 s17, s16
	s_mov_b32 s18, s16
	;; [unrolled: 1-line block ×3, first 2 shown]
	s_nop 0
	global_store_dwordx4 v32, v[3:6], s[14:15]
	v_mov_b32_e32 v2, s16
	v_addc_co_u32_e32 v10, vcc, 0, v11, vcc
	v_mov_b32_e32 v3, s17
	v_mov_b32_e32 v4, s18
	;; [unrolled: 1-line block ×3, first 2 shown]
	global_store_dwordx4 v32, v[2:5], s[14:15] offset:16
	global_store_dwordx4 v32, v[2:5], s[14:15] offset:32
	;; [unrolled: 1-line block ×3, first 2 shown]
	s_and_saveexec_b64 s[14:15], s[2:3]
	s_cbranch_execz .LBB6_23
; %bb.16:
	v_mov_b32_e32 v6, 0
	global_load_dwordx2 v[13:14], v6, s[10:11] offset:32 glc
	global_load_dwordx2 v[2:3], v6, s[10:11] offset:40
	v_mov_b32_e32 v11, s12
	v_mov_b32_e32 v12, s13
	s_waitcnt vmcnt(0)
	v_and_b32_e32 v2, s12, v2
	v_and_b32_e32 v3, s13, v3
	v_mul_lo_u32 v3, v3, 24
	v_mul_hi_u32 v4, v2, 24
	v_mul_lo_u32 v2, v2, 24
	v_add_u32_e32 v3, v4, v3
	v_add_co_u32_e32 v4, vcc, v0, v2
	v_addc_co_u32_e32 v5, vcc, v1, v3, vcc
	global_store_dwordx2 v[4:5], v[13:14], off
	s_waitcnt vmcnt(0)
	global_atomic_cmpswap_x2 v[2:3], v6, v[11:14], s[10:11] offset:32 glc
	s_waitcnt vmcnt(0)
	v_cmp_ne_u64_e32 vcc, v[2:3], v[13:14]
	s_and_saveexec_b64 s[16:17], vcc
	s_cbranch_execz .LBB6_19
; %bb.17:
	s_mov_b64 s[18:19], 0
.LBB6_18:                               ; =>This Inner Loop Header: Depth=1
	s_sleep 1
	global_store_dwordx2 v[4:5], v[2:3], off
	v_mov_b32_e32 v0, s12
	v_mov_b32_e32 v1, s13
	s_waitcnt vmcnt(0)
	global_atomic_cmpswap_x2 v[0:1], v6, v[0:3], s[10:11] offset:32 glc
	s_waitcnt vmcnt(0)
	v_cmp_eq_u64_e32 vcc, v[0:1], v[2:3]
	v_mov_b32_e32 v3, v1
	s_or_b64 s[18:19], vcc, s[18:19]
	v_mov_b32_e32 v2, v0
	s_andn2_b64 exec, exec, s[18:19]
	s_cbranch_execnz .LBB6_18
.LBB6_19:
	s_or_b64 exec, exec, s[16:17]
	v_mov_b32_e32 v3, 0
	global_load_dwordx2 v[0:1], v3, s[10:11] offset:16
	s_mov_b64 s[16:17], exec
	v_mbcnt_lo_u32_b32 v2, s16, 0
	v_mbcnt_hi_u32_b32 v2, s17, v2
	v_cmp_eq_u32_e32 vcc, 0, v2
	s_and_saveexec_b64 s[18:19], vcc
	s_cbranch_execz .LBB6_21
; %bb.20:
	s_bcnt1_i32_b64 s16, s[16:17]
	v_mov_b32_e32 v2, s16
	s_waitcnt vmcnt(0)
	global_atomic_add_x2 v[0:1], v[2:3], off offset:8
.LBB6_21:
	s_or_b64 exec, exec, s[18:19]
	s_waitcnt vmcnt(0)
	global_load_dwordx2 v[2:3], v[0:1], off offset:16
	s_waitcnt vmcnt(0)
	v_cmp_eq_u64_e32 vcc, 0, v[2:3]
	s_cbranch_vccnz .LBB6_23
; %bb.22:
	global_load_dword v0, v[0:1], off offset:24
	v_mov_b32_e32 v1, 0
	s_waitcnt vmcnt(0)
	v_readfirstlane_b32 s16, v0
	s_and_b32 m0, s16, 0xffffff
	global_store_dwordx2 v[2:3], v[0:1], off
	s_sendmsg sendmsg(MSG_INTERRUPT)
.LBB6_23:
	s_or_b64 exec, exec, s[14:15]
	s_branch .LBB6_27
.LBB6_24:                               ;   in Loop: Header=BB6_27 Depth=1
	s_or_b64 exec, exec, s[14:15]
	v_readfirstlane_b32 s14, v0
	s_cmp_eq_u32 s14, 0
	s_cbranch_scc1 .LBB6_26
; %bb.25:                               ;   in Loop: Header=BB6_27 Depth=1
	s_sleep 1
	s_cbranch_execnz .LBB6_27
	s_branch .LBB6_29
.LBB6_26:
	s_branch .LBB6_29
.LBB6_27:                               ; =>This Inner Loop Header: Depth=1
	v_mov_b32_e32 v0, 1
	s_and_saveexec_b64 s[14:15], s[2:3]
	s_cbranch_execz .LBB6_24
; %bb.28:                               ;   in Loop: Header=BB6_27 Depth=1
	global_load_dword v0, v[7:8], off offset:20 glc
	s_waitcnt vmcnt(0)
	buffer_wbinvl1_vol
	v_and_b32_e32 v0, 1, v0
	s_branch .LBB6_24
.LBB6_29:
	global_load_dwordx2 v[0:1], v[9:10], off
	s_and_saveexec_b64 s[14:15], s[2:3]
	s_cbranch_execz .LBB6_32
; %bb.30:
	v_mov_b32_e32 v8, 0
	global_load_dwordx2 v[2:3], v8, s[10:11] offset:40
	global_load_dwordx2 v[11:12], v8, s[10:11] offset:24 glc
	global_load_dwordx2 v[4:5], v8, s[10:11]
	s_waitcnt vmcnt(2)
	v_readfirstlane_b32 s16, v2
	v_readfirstlane_b32 s17, v3
	s_add_u32 s18, s16, 1
	s_addc_u32 s19, s17, 0
	s_add_u32 s2, s18, s12
	s_addc_u32 s3, s19, s13
	s_cmp_eq_u64 s[2:3], 0
	s_cselect_b32 s3, s19, s3
	s_cselect_b32 s2, s18, s2
	s_and_b64 s[12:13], s[2:3], s[16:17]
	s_mul_i32 s13, s13, 24
	s_mul_hi_u32 s16, s12, 24
	s_mul_i32 s12, s12, 24
	s_add_i32 s13, s16, s13
	v_mov_b32_e32 v2, s13
	s_waitcnt vmcnt(0)
	v_add_co_u32_e32 v6, vcc, s12, v4
	v_addc_co_u32_e32 v7, vcc, v5, v2, vcc
	v_mov_b32_e32 v9, s2
	global_store_dwordx2 v[6:7], v[11:12], off
	v_mov_b32_e32 v10, s3
	s_waitcnt vmcnt(0)
	global_atomic_cmpswap_x2 v[4:5], v8, v[9:12], s[10:11] offset:24 glc
	s_mov_b64 s[12:13], 0
	s_waitcnt vmcnt(0)
	v_cmp_ne_u64_e32 vcc, v[4:5], v[11:12]
	s_and_b64 exec, exec, vcc
	s_cbranch_execz .LBB6_32
.LBB6_31:                               ; =>This Inner Loop Header: Depth=1
	s_sleep 1
	global_store_dwordx2 v[6:7], v[4:5], off
	v_mov_b32_e32 v2, s2
	v_mov_b32_e32 v3, s3
	s_waitcnt vmcnt(0)
	global_atomic_cmpswap_x2 v[2:3], v8, v[2:5], s[10:11] offset:24 glc
	s_waitcnt vmcnt(0)
	v_cmp_eq_u64_e32 vcc, v[2:3], v[4:5]
	v_mov_b32_e32 v5, v3
	s_or_b64 s[12:13], vcc, s[12:13]
	v_mov_b32_e32 v4, v2
	s_andn2_b64 exec, exec, s[12:13]
	s_cbranch_execnz .LBB6_31
.LBB6_32:
	s_or_b64 exec, exec, s[14:15]
	s_getpc_b64 s[12:13]
	s_add_u32 s12, s12, .str.8@rel32@lo+4
	s_addc_u32 s13, s13, .str.8@rel32@hi+12
	s_cmp_lg_u64 s[12:13], 0
	s_cbranch_scc0 .LBB6_118
; %bb.33:
	s_waitcnt vmcnt(0)
	v_and_b32_e32 v35, 2, v0
	v_mov_b32_e32 v28, 0
	v_and_b32_e32 v2, -3, v0
	v_mov_b32_e32 v3, v1
	s_mov_b64 s[14:15], 0x4d
	v_mov_b32_e32 v8, 2
	v_mov_b32_e32 v9, 1
	s_branch .LBB6_35
.LBB6_34:                               ;   in Loop: Header=BB6_35 Depth=1
	s_or_b64 exec, exec, s[20:21]
	s_sub_u32 s14, s14, s16
	s_subb_u32 s15, s15, s17
	s_add_u32 s12, s12, s16
	s_addc_u32 s13, s13, s17
	s_cmp_lg_u64 s[14:15], 0
	s_cbranch_scc0 .LBB6_117
.LBB6_35:                               ; =>This Loop Header: Depth=1
                                        ;     Child Loop BB6_38 Depth 2
                                        ;     Child Loop BB6_46 Depth 2
	;; [unrolled: 1-line block ×11, first 2 shown]
	v_cmp_lt_u64_e64 s[2:3], s[14:15], 56
	v_cmp_gt_u64_e64 s[18:19], s[14:15], 7
	s_and_b64 s[2:3], s[2:3], exec
	s_cselect_b32 s17, s15, 0
	s_cselect_b32 s16, s14, 56
	s_add_u32 s2, s12, 8
	s_addc_u32 s3, s13, 0
	s_and_b64 vcc, exec, s[18:19]
	s_cbranch_vccnz .LBB6_39
; %bb.36:                               ;   in Loop: Header=BB6_35 Depth=1
	s_cmp_eq_u64 s[14:15], 0
	s_cbranch_scc1 .LBB6_40
; %bb.37:                               ;   in Loop: Header=BB6_35 Depth=1
	v_mov_b32_e32 v4, 0
	s_lshl_b64 s[2:3], s[16:17], 3
	s_mov_b64 s[18:19], 0
	v_mov_b32_e32 v5, 0
	s_mov_b64 s[20:21], s[12:13]
.LBB6_38:                               ;   Parent Loop BB6_35 Depth=1
                                        ; =>  This Inner Loop Header: Depth=2
	global_load_ubyte v6, v28, s[20:21]
	s_waitcnt vmcnt(0)
	v_and_b32_e32 v27, 0xffff, v6
	v_lshlrev_b64 v[6:7], s18, v[27:28]
	s_add_u32 s18, s18, 8
	s_addc_u32 s19, s19, 0
	s_add_u32 s20, s20, 1
	s_addc_u32 s21, s21, 0
	v_or_b32_e32 v4, v6, v4
	s_cmp_lg_u32 s2, s18
	v_or_b32_e32 v5, v7, v5
	s_cbranch_scc1 .LBB6_38
	s_branch .LBB6_41
.LBB6_39:                               ;   in Loop: Header=BB6_35 Depth=1
	s_mov_b32 s22, 0
	s_branch .LBB6_42
.LBB6_40:                               ;   in Loop: Header=BB6_35 Depth=1
	v_mov_b32_e32 v4, 0
	v_mov_b32_e32 v5, 0
.LBB6_41:                               ;   in Loop: Header=BB6_35 Depth=1
	s_mov_b64 s[2:3], s[12:13]
	s_mov_b32 s22, 0
	s_cbranch_execnz .LBB6_43
.LBB6_42:                               ;   in Loop: Header=BB6_35 Depth=1
	global_load_dwordx2 v[4:5], v28, s[12:13]
	s_add_i32 s22, s16, -8
.LBB6_43:                               ;   in Loop: Header=BB6_35 Depth=1
	s_add_u32 s18, s2, 8
	s_addc_u32 s19, s3, 0
	s_cmp_gt_u32 s22, 7
	s_cbranch_scc1 .LBB6_47
; %bb.44:                               ;   in Loop: Header=BB6_35 Depth=1
	s_cmp_eq_u32 s22, 0
	s_cbranch_scc1 .LBB6_48
; %bb.45:                               ;   in Loop: Header=BB6_35 Depth=1
	v_mov_b32_e32 v10, 0
	s_mov_b64 s[18:19], 0
	v_mov_b32_e32 v11, 0
	s_mov_b64 s[20:21], 0
.LBB6_46:                               ;   Parent Loop BB6_35 Depth=1
                                        ; =>  This Inner Loop Header: Depth=2
	s_add_u32 s24, s2, s20
	s_addc_u32 s25, s3, s21
	global_load_ubyte v6, v28, s[24:25]
	s_add_u32 s20, s20, 1
	s_addc_u32 s21, s21, 0
	s_waitcnt vmcnt(0)
	v_and_b32_e32 v27, 0xffff, v6
	v_lshlrev_b64 v[6:7], s18, v[27:28]
	s_add_u32 s18, s18, 8
	s_addc_u32 s19, s19, 0
	v_or_b32_e32 v10, v6, v10
	s_cmp_lg_u32 s22, s20
	v_or_b32_e32 v11, v7, v11
	s_cbranch_scc1 .LBB6_46
	s_branch .LBB6_49
.LBB6_47:                               ;   in Loop: Header=BB6_35 Depth=1
                                        ; implicit-def: $vgpr10_vgpr11
	s_mov_b32 s23, 0
	s_branch .LBB6_50
.LBB6_48:                               ;   in Loop: Header=BB6_35 Depth=1
	v_mov_b32_e32 v10, 0
	v_mov_b32_e32 v11, 0
.LBB6_49:                               ;   in Loop: Header=BB6_35 Depth=1
	s_mov_b64 s[18:19], s[2:3]
	s_mov_b32 s23, 0
	s_cbranch_execnz .LBB6_51
.LBB6_50:                               ;   in Loop: Header=BB6_35 Depth=1
	global_load_dwordx2 v[10:11], v28, s[2:3]
	s_add_i32 s23, s22, -8
.LBB6_51:                               ;   in Loop: Header=BB6_35 Depth=1
	s_add_u32 s2, s18, 8
	s_addc_u32 s3, s19, 0
	s_cmp_gt_u32 s23, 7
	s_cbranch_scc1 .LBB6_55
; %bb.52:                               ;   in Loop: Header=BB6_35 Depth=1
	s_cmp_eq_u32 s23, 0
	s_cbranch_scc1 .LBB6_56
; %bb.53:                               ;   in Loop: Header=BB6_35 Depth=1
	v_mov_b32_e32 v12, 0
	s_mov_b64 s[2:3], 0
	v_mov_b32_e32 v13, 0
	s_mov_b64 s[20:21], 0
.LBB6_54:                               ;   Parent Loop BB6_35 Depth=1
                                        ; =>  This Inner Loop Header: Depth=2
	s_add_u32 s24, s18, s20
	s_addc_u32 s25, s19, s21
	global_load_ubyte v6, v28, s[24:25]
	s_add_u32 s20, s20, 1
	s_addc_u32 s21, s21, 0
	s_waitcnt vmcnt(0)
	v_and_b32_e32 v27, 0xffff, v6
	v_lshlrev_b64 v[6:7], s2, v[27:28]
	s_add_u32 s2, s2, 8
	s_addc_u32 s3, s3, 0
	v_or_b32_e32 v12, v6, v12
	s_cmp_lg_u32 s23, s20
	v_or_b32_e32 v13, v7, v13
	s_cbranch_scc1 .LBB6_54
	s_branch .LBB6_57
.LBB6_55:                               ;   in Loop: Header=BB6_35 Depth=1
	s_mov_b32 s22, 0
	s_branch .LBB6_58
.LBB6_56:                               ;   in Loop: Header=BB6_35 Depth=1
	v_mov_b32_e32 v12, 0
	v_mov_b32_e32 v13, 0
.LBB6_57:                               ;   in Loop: Header=BB6_35 Depth=1
	s_mov_b64 s[2:3], s[18:19]
	s_mov_b32 s22, 0
	s_cbranch_execnz .LBB6_59
.LBB6_58:                               ;   in Loop: Header=BB6_35 Depth=1
	global_load_dwordx2 v[12:13], v28, s[18:19]
	s_add_i32 s22, s23, -8
.LBB6_59:                               ;   in Loop: Header=BB6_35 Depth=1
	s_add_u32 s18, s2, 8
	s_addc_u32 s19, s3, 0
	s_cmp_gt_u32 s22, 7
	s_cbranch_scc1 .LBB6_63
; %bb.60:                               ;   in Loop: Header=BB6_35 Depth=1
	s_cmp_eq_u32 s22, 0
	s_cbranch_scc1 .LBB6_64
; %bb.61:                               ;   in Loop: Header=BB6_35 Depth=1
	v_mov_b32_e32 v14, 0
	s_mov_b64 s[18:19], 0
	v_mov_b32_e32 v15, 0
	s_mov_b64 s[20:21], 0
.LBB6_62:                               ;   Parent Loop BB6_35 Depth=1
                                        ; =>  This Inner Loop Header: Depth=2
	s_add_u32 s24, s2, s20
	s_addc_u32 s25, s3, s21
	global_load_ubyte v6, v28, s[24:25]
	s_add_u32 s20, s20, 1
	s_addc_u32 s21, s21, 0
	s_waitcnt vmcnt(0)
	v_and_b32_e32 v27, 0xffff, v6
	v_lshlrev_b64 v[6:7], s18, v[27:28]
	s_add_u32 s18, s18, 8
	s_addc_u32 s19, s19, 0
	v_or_b32_e32 v14, v6, v14
	s_cmp_lg_u32 s22, s20
	v_or_b32_e32 v15, v7, v15
	s_cbranch_scc1 .LBB6_62
	s_branch .LBB6_65
.LBB6_63:                               ;   in Loop: Header=BB6_35 Depth=1
                                        ; implicit-def: $vgpr14_vgpr15
	s_mov_b32 s23, 0
	s_branch .LBB6_66
.LBB6_64:                               ;   in Loop: Header=BB6_35 Depth=1
	v_mov_b32_e32 v14, 0
	v_mov_b32_e32 v15, 0
.LBB6_65:                               ;   in Loop: Header=BB6_35 Depth=1
	s_mov_b64 s[18:19], s[2:3]
	s_mov_b32 s23, 0
	s_cbranch_execnz .LBB6_67
.LBB6_66:                               ;   in Loop: Header=BB6_35 Depth=1
	global_load_dwordx2 v[14:15], v28, s[2:3]
	s_add_i32 s23, s22, -8
.LBB6_67:                               ;   in Loop: Header=BB6_35 Depth=1
	s_add_u32 s2, s18, 8
	s_addc_u32 s3, s19, 0
	s_cmp_gt_u32 s23, 7
	s_cbranch_scc1 .LBB6_71
; %bb.68:                               ;   in Loop: Header=BB6_35 Depth=1
	s_cmp_eq_u32 s23, 0
	s_cbranch_scc1 .LBB6_72
; %bb.69:                               ;   in Loop: Header=BB6_35 Depth=1
	v_mov_b32_e32 v16, 0
	s_mov_b64 s[2:3], 0
	v_mov_b32_e32 v17, 0
	s_mov_b64 s[20:21], 0
.LBB6_70:                               ;   Parent Loop BB6_35 Depth=1
                                        ; =>  This Inner Loop Header: Depth=2
	s_add_u32 s24, s18, s20
	s_addc_u32 s25, s19, s21
	global_load_ubyte v6, v28, s[24:25]
	s_add_u32 s20, s20, 1
	s_addc_u32 s21, s21, 0
	s_waitcnt vmcnt(0)
	v_and_b32_e32 v27, 0xffff, v6
	v_lshlrev_b64 v[6:7], s2, v[27:28]
	s_add_u32 s2, s2, 8
	s_addc_u32 s3, s3, 0
	v_or_b32_e32 v16, v6, v16
	s_cmp_lg_u32 s23, s20
	v_or_b32_e32 v17, v7, v17
	s_cbranch_scc1 .LBB6_70
	s_branch .LBB6_73
.LBB6_71:                               ;   in Loop: Header=BB6_35 Depth=1
	s_mov_b32 s22, 0
	s_branch .LBB6_74
.LBB6_72:                               ;   in Loop: Header=BB6_35 Depth=1
	v_mov_b32_e32 v16, 0
	v_mov_b32_e32 v17, 0
.LBB6_73:                               ;   in Loop: Header=BB6_35 Depth=1
	s_mov_b64 s[2:3], s[18:19]
	s_mov_b32 s22, 0
	s_cbranch_execnz .LBB6_75
.LBB6_74:                               ;   in Loop: Header=BB6_35 Depth=1
	global_load_dwordx2 v[16:17], v28, s[18:19]
	s_add_i32 s22, s23, -8
.LBB6_75:                               ;   in Loop: Header=BB6_35 Depth=1
	s_add_u32 s18, s2, 8
	s_addc_u32 s19, s3, 0
	s_cmp_gt_u32 s22, 7
	s_cbranch_scc1 .LBB6_79
; %bb.76:                               ;   in Loop: Header=BB6_35 Depth=1
	s_cmp_eq_u32 s22, 0
	s_cbranch_scc1 .LBB6_80
; %bb.77:                               ;   in Loop: Header=BB6_35 Depth=1
	v_mov_b32_e32 v18, 0
	s_mov_b64 s[18:19], 0
	v_mov_b32_e32 v19, 0
	s_mov_b64 s[20:21], 0
.LBB6_78:                               ;   Parent Loop BB6_35 Depth=1
                                        ; =>  This Inner Loop Header: Depth=2
	s_add_u32 s24, s2, s20
	s_addc_u32 s25, s3, s21
	global_load_ubyte v6, v28, s[24:25]
	s_add_u32 s20, s20, 1
	s_addc_u32 s21, s21, 0
	s_waitcnt vmcnt(0)
	v_and_b32_e32 v27, 0xffff, v6
	v_lshlrev_b64 v[6:7], s18, v[27:28]
	s_add_u32 s18, s18, 8
	s_addc_u32 s19, s19, 0
	v_or_b32_e32 v18, v6, v18
	s_cmp_lg_u32 s22, s20
	v_or_b32_e32 v19, v7, v19
	s_cbranch_scc1 .LBB6_78
	s_branch .LBB6_81
.LBB6_79:                               ;   in Loop: Header=BB6_35 Depth=1
                                        ; implicit-def: $vgpr18_vgpr19
	s_mov_b32 s23, 0
	s_branch .LBB6_82
.LBB6_80:                               ;   in Loop: Header=BB6_35 Depth=1
	v_mov_b32_e32 v18, 0
	v_mov_b32_e32 v19, 0
.LBB6_81:                               ;   in Loop: Header=BB6_35 Depth=1
	s_mov_b64 s[18:19], s[2:3]
	s_mov_b32 s23, 0
	s_cbranch_execnz .LBB6_83
.LBB6_82:                               ;   in Loop: Header=BB6_35 Depth=1
	global_load_dwordx2 v[18:19], v28, s[2:3]
	s_add_i32 s23, s22, -8
.LBB6_83:                               ;   in Loop: Header=BB6_35 Depth=1
	s_cmp_gt_u32 s23, 7
	s_cbranch_scc1 .LBB6_87
; %bb.84:                               ;   in Loop: Header=BB6_35 Depth=1
	s_cmp_eq_u32 s23, 0
	s_cbranch_scc1 .LBB6_88
; %bb.85:                               ;   in Loop: Header=BB6_35 Depth=1
	v_mov_b32_e32 v20, 0
	s_mov_b64 s[2:3], 0
	v_mov_b32_e32 v21, 0
	s_mov_b64 s[20:21], s[18:19]
.LBB6_86:                               ;   Parent Loop BB6_35 Depth=1
                                        ; =>  This Inner Loop Header: Depth=2
	global_load_ubyte v6, v28, s[20:21]
	s_add_i32 s23, s23, -1
	s_waitcnt vmcnt(0)
	v_and_b32_e32 v27, 0xffff, v6
	v_lshlrev_b64 v[6:7], s2, v[27:28]
	s_add_u32 s2, s2, 8
	s_addc_u32 s3, s3, 0
	s_add_u32 s20, s20, 1
	s_addc_u32 s21, s21, 0
	v_or_b32_e32 v20, v6, v20
	s_cmp_lg_u32 s23, 0
	v_or_b32_e32 v21, v7, v21
	s_cbranch_scc1 .LBB6_86
	s_branch .LBB6_89
.LBB6_87:                               ;   in Loop: Header=BB6_35 Depth=1
	s_branch .LBB6_90
.LBB6_88:                               ;   in Loop: Header=BB6_35 Depth=1
	v_mov_b32_e32 v20, 0
	v_mov_b32_e32 v21, 0
.LBB6_89:                               ;   in Loop: Header=BB6_35 Depth=1
	s_cbranch_execnz .LBB6_91
.LBB6_90:                               ;   in Loop: Header=BB6_35 Depth=1
	global_load_dwordx2 v[20:21], v28, s[18:19]
.LBB6_91:                               ;   in Loop: Header=BB6_35 Depth=1
	v_readfirstlane_b32 s2, v33
	v_mov_b32_e32 v6, 0
	v_mov_b32_e32 v7, 0
	v_cmp_eq_u32_e64 s[2:3], s2, v33
	s_and_saveexec_b64 s[18:19], s[2:3]
	s_cbranch_execz .LBB6_97
; %bb.92:                               ;   in Loop: Header=BB6_35 Depth=1
	global_load_dwordx2 v[24:25], v28, s[10:11] offset:24 glc
	s_waitcnt vmcnt(0)
	buffer_wbinvl1_vol
	global_load_dwordx2 v[6:7], v28, s[10:11] offset:40
	global_load_dwordx2 v[22:23], v28, s[10:11]
	s_waitcnt vmcnt(1)
	v_and_b32_e32 v6, v6, v24
	v_and_b32_e32 v7, v7, v25
	v_mul_lo_u32 v7, v7, 24
	v_mul_hi_u32 v27, v6, 24
	v_mul_lo_u32 v6, v6, 24
	v_add_u32_e32 v7, v27, v7
	s_waitcnt vmcnt(0)
	v_add_co_u32_e32 v6, vcc, v22, v6
	v_addc_co_u32_e32 v7, vcc, v23, v7, vcc
	global_load_dwordx2 v[22:23], v[6:7], off glc
	s_waitcnt vmcnt(0)
	global_atomic_cmpswap_x2 v[6:7], v28, v[22:25], s[10:11] offset:24 glc
	s_waitcnt vmcnt(0)
	buffer_wbinvl1_vol
	v_cmp_ne_u64_e32 vcc, v[6:7], v[24:25]
	s_and_saveexec_b64 s[20:21], vcc
	s_cbranch_execz .LBB6_96
; %bb.93:                               ;   in Loop: Header=BB6_35 Depth=1
	s_mov_b64 s[22:23], 0
.LBB6_94:                               ;   Parent Loop BB6_35 Depth=1
                                        ; =>  This Inner Loop Header: Depth=2
	s_sleep 1
	global_load_dwordx2 v[22:23], v28, s[10:11] offset:40
	global_load_dwordx2 v[29:30], v28, s[10:11]
	v_mov_b32_e32 v25, v7
	v_mov_b32_e32 v24, v6
	s_waitcnt vmcnt(1)
	v_and_b32_e32 v6, v22, v24
	s_waitcnt vmcnt(0)
	v_mad_u64_u32 v[6:7], s[24:25], v6, 24, v[29:30]
	v_and_b32_e32 v22, v23, v25
	v_mad_u64_u32 v[22:23], s[24:25], v22, 24, v[7:8]
	v_mov_b32_e32 v7, v22
	global_load_dwordx2 v[22:23], v[6:7], off glc
	s_waitcnt vmcnt(0)
	global_atomic_cmpswap_x2 v[6:7], v28, v[22:25], s[10:11] offset:24 glc
	s_waitcnt vmcnt(0)
	buffer_wbinvl1_vol
	v_cmp_eq_u64_e32 vcc, v[6:7], v[24:25]
	s_or_b64 s[22:23], vcc, s[22:23]
	s_andn2_b64 exec, exec, s[22:23]
	s_cbranch_execnz .LBB6_94
; %bb.95:                               ;   in Loop: Header=BB6_35 Depth=1
	s_or_b64 exec, exec, s[22:23]
.LBB6_96:                               ;   in Loop: Header=BB6_35 Depth=1
	s_or_b64 exec, exec, s[20:21]
.LBB6_97:                               ;   in Loop: Header=BB6_35 Depth=1
	s_or_b64 exec, exec, s[18:19]
	global_load_dwordx2 v[29:30], v28, s[10:11] offset:40
	global_load_dwordx4 v[22:25], v28, s[10:11]
	v_readfirstlane_b32 s19, v7
	v_readfirstlane_b32 s18, v6
	s_mov_b64 s[20:21], exec
	s_waitcnt vmcnt(1)
	v_readfirstlane_b32 s22, v29
	v_readfirstlane_b32 s23, v30
	s_and_b64 s[22:23], s[22:23], s[18:19]
	s_mul_i32 s24, s23, 24
	s_mul_hi_u32 s25, s22, 24
	s_mul_i32 s29, s22, 24
	s_add_i32 s24, s25, s24
	v_mov_b32_e32 v6, s24
	s_waitcnt vmcnt(0)
	v_add_co_u32_e32 v29, vcc, s29, v22
	v_addc_co_u32_e32 v30, vcc, v23, v6, vcc
	s_and_saveexec_b64 s[24:25], s[2:3]
	s_cbranch_execz .LBB6_99
; %bb.98:                               ;   in Loop: Header=BB6_35 Depth=1
	v_mov_b32_e32 v6, s20
	v_mov_b32_e32 v7, s21
	global_store_dwordx4 v[29:30], v[6:9], off offset:8
.LBB6_99:                               ;   in Loop: Header=BB6_35 Depth=1
	s_or_b64 exec, exec, s[24:25]
	s_lshl_b64 s[20:21], s[22:23], 12
	v_mov_b32_e32 v6, s21
	v_add_co_u32_e32 v24, vcc, s20, v24
	v_addc_co_u32_e32 v25, vcc, v25, v6, vcc
	v_cmp_lt_u64_e64 vcc, s[14:15], 57
	s_lshl_b32 s20, s16, 2
	v_cndmask_b32_e32 v6, 0, v35, vcc
	s_add_i32 s20, s20, 28
	v_and_b32_e32 v2, 0xffffff1f, v2
	s_and_b32 s20, s20, 0x1e0
	v_or_b32_e32 v2, v2, v6
	v_or_b32_e32 v2, s20, v2
	v_readfirstlane_b32 s20, v24
	v_readfirstlane_b32 s21, v25
	s_nop 4
	global_store_dwordx4 v32, v[2:5], s[20:21]
	global_store_dwordx4 v32, v[10:13], s[20:21] offset:16
	global_store_dwordx4 v32, v[14:17], s[20:21] offset:32
	;; [unrolled: 1-line block ×3, first 2 shown]
	s_and_saveexec_b64 s[20:21], s[2:3]
	s_cbranch_execz .LBB6_107
; %bb.100:                              ;   in Loop: Header=BB6_35 Depth=1
	global_load_dwordx2 v[12:13], v28, s[10:11] offset:32 glc
	global_load_dwordx2 v[2:3], v28, s[10:11] offset:40
	v_mov_b32_e32 v10, s18
	v_mov_b32_e32 v11, s19
	s_waitcnt vmcnt(0)
	v_readfirstlane_b32 s22, v2
	v_readfirstlane_b32 s23, v3
	s_and_b64 s[22:23], s[22:23], s[18:19]
	s_mul_i32 s23, s23, 24
	s_mul_hi_u32 s24, s22, 24
	s_mul_i32 s22, s22, 24
	s_add_i32 s23, s24, s23
	v_mov_b32_e32 v2, s23
	v_add_co_u32_e32 v6, vcc, s22, v22
	v_addc_co_u32_e32 v7, vcc, v23, v2, vcc
	global_store_dwordx2 v[6:7], v[12:13], off
	s_waitcnt vmcnt(0)
	global_atomic_cmpswap_x2 v[4:5], v28, v[10:13], s[10:11] offset:32 glc
	s_waitcnt vmcnt(0)
	v_cmp_ne_u64_e32 vcc, v[4:5], v[12:13]
	s_and_saveexec_b64 s[22:23], vcc
	s_cbranch_execz .LBB6_103
; %bb.101:                              ;   in Loop: Header=BB6_35 Depth=1
	s_mov_b64 s[24:25], 0
.LBB6_102:                              ;   Parent Loop BB6_35 Depth=1
                                        ; =>  This Inner Loop Header: Depth=2
	s_sleep 1
	global_store_dwordx2 v[6:7], v[4:5], off
	v_mov_b32_e32 v2, s18
	v_mov_b32_e32 v3, s19
	s_waitcnt vmcnt(0)
	global_atomic_cmpswap_x2 v[2:3], v28, v[2:5], s[10:11] offset:32 glc
	s_waitcnt vmcnt(0)
	v_cmp_eq_u64_e32 vcc, v[2:3], v[4:5]
	v_mov_b32_e32 v5, v3
	s_or_b64 s[24:25], vcc, s[24:25]
	v_mov_b32_e32 v4, v2
	s_andn2_b64 exec, exec, s[24:25]
	s_cbranch_execnz .LBB6_102
.LBB6_103:                              ;   in Loop: Header=BB6_35 Depth=1
	s_or_b64 exec, exec, s[22:23]
	global_load_dwordx2 v[2:3], v28, s[10:11] offset:16
	s_mov_b64 s[24:25], exec
	v_mbcnt_lo_u32_b32 v4, s24, 0
	v_mbcnt_hi_u32_b32 v4, s25, v4
	v_cmp_eq_u32_e32 vcc, 0, v4
	s_and_saveexec_b64 s[22:23], vcc
	s_cbranch_execz .LBB6_105
; %bb.104:                              ;   in Loop: Header=BB6_35 Depth=1
	s_bcnt1_i32_b64 s24, s[24:25]
	v_mov_b32_e32 v27, s24
	s_waitcnt vmcnt(0)
	global_atomic_add_x2 v[2:3], v[27:28], off offset:8
.LBB6_105:                              ;   in Loop: Header=BB6_35 Depth=1
	s_or_b64 exec, exec, s[22:23]
	s_waitcnt vmcnt(0)
	global_load_dwordx2 v[4:5], v[2:3], off offset:16
	s_waitcnt vmcnt(0)
	v_cmp_eq_u64_e32 vcc, 0, v[4:5]
	s_cbranch_vccnz .LBB6_107
; %bb.106:                              ;   in Loop: Header=BB6_35 Depth=1
	global_load_dword v27, v[2:3], off offset:24
	s_waitcnt vmcnt(0)
	v_readfirstlane_b32 s22, v27
	s_and_b32 m0, s22, 0xffffff
	global_store_dwordx2 v[4:5], v[27:28], off
	s_sendmsg sendmsg(MSG_INTERRUPT)
.LBB6_107:                              ;   in Loop: Header=BB6_35 Depth=1
	s_or_b64 exec, exec, s[20:21]
	v_add_co_u32_e32 v2, vcc, v24, v32
	v_addc_co_u32_e32 v3, vcc, 0, v25, vcc
	s_branch .LBB6_111
.LBB6_108:                              ;   in Loop: Header=BB6_111 Depth=2
	s_or_b64 exec, exec, s[20:21]
	v_readfirstlane_b32 s20, v4
	s_cmp_eq_u32 s20, 0
	s_cbranch_scc1 .LBB6_110
; %bb.109:                              ;   in Loop: Header=BB6_111 Depth=2
	s_sleep 1
	s_cbranch_execnz .LBB6_111
	s_branch .LBB6_113
.LBB6_110:                              ;   in Loop: Header=BB6_35 Depth=1
	s_branch .LBB6_113
.LBB6_111:                              ;   Parent Loop BB6_35 Depth=1
                                        ; =>  This Inner Loop Header: Depth=2
	v_mov_b32_e32 v4, 1
	s_and_saveexec_b64 s[20:21], s[2:3]
	s_cbranch_execz .LBB6_108
; %bb.112:                              ;   in Loop: Header=BB6_111 Depth=2
	global_load_dword v4, v[29:30], off offset:20 glc
	s_waitcnt vmcnt(0)
	buffer_wbinvl1_vol
	v_and_b32_e32 v4, 1, v4
	s_branch .LBB6_108
.LBB6_113:                              ;   in Loop: Header=BB6_35 Depth=1
	global_load_dwordx2 v[2:3], v[2:3], off
	s_and_saveexec_b64 s[20:21], s[2:3]
	s_cbranch_execz .LBB6_34
; %bb.114:                              ;   in Loop: Header=BB6_35 Depth=1
	global_load_dwordx2 v[4:5], v28, s[10:11] offset:40
	global_load_dwordx2 v[14:15], v28, s[10:11] offset:24 glc
	global_load_dwordx2 v[6:7], v28, s[10:11]
	s_waitcnt vmcnt(2)
	v_readfirstlane_b32 s22, v4
	v_readfirstlane_b32 s23, v5
	s_add_u32 s24, s22, 1
	s_addc_u32 s25, s23, 0
	s_add_u32 s2, s24, s18
	s_addc_u32 s3, s25, s19
	s_cmp_eq_u64 s[2:3], 0
	s_cselect_b32 s3, s25, s3
	s_cselect_b32 s2, s24, s2
	s_and_b64 s[18:19], s[2:3], s[22:23]
	s_mul_i32 s19, s19, 24
	s_mul_hi_u32 s22, s18, 24
	s_mul_i32 s18, s18, 24
	s_add_i32 s19, s22, s19
	v_mov_b32_e32 v4, s19
	s_waitcnt vmcnt(0)
	v_add_co_u32_e32 v10, vcc, s18, v6
	v_addc_co_u32_e32 v11, vcc, v7, v4, vcc
	v_mov_b32_e32 v12, s2
	global_store_dwordx2 v[10:11], v[14:15], off
	v_mov_b32_e32 v13, s3
	s_waitcnt vmcnt(0)
	global_atomic_cmpswap_x2 v[6:7], v28, v[12:15], s[10:11] offset:24 glc
	s_waitcnt vmcnt(0)
	v_cmp_ne_u64_e32 vcc, v[6:7], v[14:15]
	s_and_b64 exec, exec, vcc
	s_cbranch_execz .LBB6_34
; %bb.115:                              ;   in Loop: Header=BB6_35 Depth=1
	s_mov_b64 s[18:19], 0
.LBB6_116:                              ;   Parent Loop BB6_35 Depth=1
                                        ; =>  This Inner Loop Header: Depth=2
	s_sleep 1
	global_store_dwordx2 v[10:11], v[6:7], off
	v_mov_b32_e32 v4, s2
	v_mov_b32_e32 v5, s3
	s_waitcnt vmcnt(0)
	global_atomic_cmpswap_x2 v[4:5], v28, v[4:7], s[10:11] offset:24 glc
	s_waitcnt vmcnt(0)
	v_cmp_eq_u64_e32 vcc, v[4:5], v[6:7]
	v_mov_b32_e32 v7, v5
	s_or_b64 s[18:19], vcc, s[18:19]
	v_mov_b32_e32 v6, v4
	s_andn2_b64 exec, exec, s[18:19]
	s_cbranch_execnz .LBB6_116
	s_branch .LBB6_34
.LBB6_117:
	s_branch .LBB6_145
.LBB6_118:
                                        ; implicit-def: $vgpr2_vgpr3
	s_cbranch_execz .LBB6_145
; %bb.119:
	v_readfirstlane_b32 s2, v33
	v_mov_b32_e32 v8, 0
	v_mov_b32_e32 v9, 0
	v_cmp_eq_u32_e64 s[2:3], s2, v33
	s_and_saveexec_b64 s[12:13], s[2:3]
	s_cbranch_execz .LBB6_125
; %bb.120:
	s_waitcnt vmcnt(0)
	v_mov_b32_e32 v2, 0
	global_load_dwordx2 v[5:6], v2, s[10:11] offset:24 glc
	s_waitcnt vmcnt(0)
	buffer_wbinvl1_vol
	global_load_dwordx2 v[3:4], v2, s[10:11] offset:40
	global_load_dwordx2 v[7:8], v2, s[10:11]
	s_waitcnt vmcnt(1)
	v_and_b32_e32 v3, v3, v5
	v_and_b32_e32 v4, v4, v6
	v_mul_lo_u32 v4, v4, 24
	v_mul_hi_u32 v9, v3, 24
	v_mul_lo_u32 v3, v3, 24
	v_add_u32_e32 v4, v9, v4
	s_waitcnt vmcnt(0)
	v_add_co_u32_e32 v3, vcc, v7, v3
	v_addc_co_u32_e32 v4, vcc, v8, v4, vcc
	global_load_dwordx2 v[3:4], v[3:4], off glc
	s_waitcnt vmcnt(0)
	global_atomic_cmpswap_x2 v[8:9], v2, v[3:6], s[10:11] offset:24 glc
	s_waitcnt vmcnt(0)
	buffer_wbinvl1_vol
	v_cmp_ne_u64_e32 vcc, v[8:9], v[5:6]
	s_and_saveexec_b64 s[14:15], vcc
	s_cbranch_execz .LBB6_124
; %bb.121:
	s_mov_b64 s[16:17], 0
.LBB6_122:                              ; =>This Inner Loop Header: Depth=1
	s_sleep 1
	global_load_dwordx2 v[3:4], v2, s[10:11] offset:40
	global_load_dwordx2 v[10:11], v2, s[10:11]
	v_mov_b32_e32 v5, v8
	v_mov_b32_e32 v6, v9
	s_waitcnt vmcnt(1)
	v_and_b32_e32 v3, v3, v5
	s_waitcnt vmcnt(0)
	v_mad_u64_u32 v[7:8], s[18:19], v3, 24, v[10:11]
	v_and_b32_e32 v4, v4, v6
	v_mov_b32_e32 v3, v8
	v_mad_u64_u32 v[3:4], s[18:19], v4, 24, v[3:4]
	v_mov_b32_e32 v8, v3
	global_load_dwordx2 v[3:4], v[7:8], off glc
	s_waitcnt vmcnt(0)
	global_atomic_cmpswap_x2 v[8:9], v2, v[3:6], s[10:11] offset:24 glc
	s_waitcnt vmcnt(0)
	buffer_wbinvl1_vol
	v_cmp_eq_u64_e32 vcc, v[8:9], v[5:6]
	s_or_b64 s[16:17], vcc, s[16:17]
	s_andn2_b64 exec, exec, s[16:17]
	s_cbranch_execnz .LBB6_122
; %bb.123:
	s_or_b64 exec, exec, s[16:17]
.LBB6_124:
	s_or_b64 exec, exec, s[14:15]
.LBB6_125:
	s_or_b64 exec, exec, s[12:13]
	s_waitcnt vmcnt(0)
	v_mov_b32_e32 v2, 0
	global_load_dwordx2 v[10:11], v2, s[10:11] offset:40
	global_load_dwordx4 v[4:7], v2, s[10:11]
	v_readfirstlane_b32 s13, v9
	v_readfirstlane_b32 s12, v8
	s_mov_b64 s[14:15], exec
	s_waitcnt vmcnt(1)
	v_readfirstlane_b32 s16, v10
	v_readfirstlane_b32 s17, v11
	s_and_b64 s[16:17], s[16:17], s[12:13]
	s_mul_i32 s18, s17, 24
	s_mul_hi_u32 s19, s16, 24
	s_mul_i32 s20, s16, 24
	s_add_i32 s18, s19, s18
	v_mov_b32_e32 v3, s18
	s_waitcnt vmcnt(0)
	v_add_co_u32_e32 v8, vcc, s20, v4
	v_addc_co_u32_e32 v9, vcc, v5, v3, vcc
	s_and_saveexec_b64 s[18:19], s[2:3]
	s_cbranch_execz .LBB6_127
; %bb.126:
	v_mov_b32_e32 v10, s14
	v_mov_b32_e32 v11, s15
	;; [unrolled: 1-line block ×4, first 2 shown]
	global_store_dwordx4 v[8:9], v[10:13], off offset:8
.LBB6_127:
	s_or_b64 exec, exec, s[18:19]
	s_lshl_b64 s[14:15], s[16:17], 12
	v_mov_b32_e32 v3, s15
	v_add_co_u32_e32 v10, vcc, s14, v6
	v_addc_co_u32_e32 v11, vcc, v7, v3, vcc
	s_movk_i32 s14, 0xff1f
	v_and_or_b32 v0, v0, s14, 32
	s_mov_b32 s16, 0
	v_mov_b32_e32 v3, v2
	v_readfirstlane_b32 s14, v10
	v_readfirstlane_b32 s15, v11
	v_add_co_u32_e32 v6, vcc, v10, v32
	s_mov_b32 s17, s16
	s_mov_b32 s18, s16
	;; [unrolled: 1-line block ×3, first 2 shown]
	s_nop 0
	global_store_dwordx4 v32, v[0:3], s[14:15]
	v_addc_co_u32_e32 v7, vcc, 0, v11, vcc
	v_mov_b32_e32 v0, s16
	v_mov_b32_e32 v1, s17
	v_mov_b32_e32 v2, s18
	v_mov_b32_e32 v3, s19
	global_store_dwordx4 v32, v[0:3], s[14:15] offset:16
	global_store_dwordx4 v32, v[0:3], s[14:15] offset:32
	;; [unrolled: 1-line block ×3, first 2 shown]
	s_and_saveexec_b64 s[14:15], s[2:3]
	s_cbranch_execz .LBB6_135
; %bb.128:
	v_mov_b32_e32 v10, 0
	global_load_dwordx2 v[13:14], v10, s[10:11] offset:32 glc
	global_load_dwordx2 v[0:1], v10, s[10:11] offset:40
	v_mov_b32_e32 v11, s12
	v_mov_b32_e32 v12, s13
	s_waitcnt vmcnt(0)
	v_readfirstlane_b32 s16, v0
	v_readfirstlane_b32 s17, v1
	s_and_b64 s[16:17], s[16:17], s[12:13]
	s_mul_i32 s17, s17, 24
	s_mul_hi_u32 s18, s16, 24
	s_mul_i32 s16, s16, 24
	s_add_i32 s17, s18, s17
	v_mov_b32_e32 v0, s17
	v_add_co_u32_e32 v4, vcc, s16, v4
	v_addc_co_u32_e32 v5, vcc, v5, v0, vcc
	global_store_dwordx2 v[4:5], v[13:14], off
	s_waitcnt vmcnt(0)
	global_atomic_cmpswap_x2 v[2:3], v10, v[11:14], s[10:11] offset:32 glc
	s_waitcnt vmcnt(0)
	v_cmp_ne_u64_e32 vcc, v[2:3], v[13:14]
	s_and_saveexec_b64 s[16:17], vcc
	s_cbranch_execz .LBB6_131
; %bb.129:
	s_mov_b64 s[18:19], 0
.LBB6_130:                              ; =>This Inner Loop Header: Depth=1
	s_sleep 1
	global_store_dwordx2 v[4:5], v[2:3], off
	v_mov_b32_e32 v0, s12
	v_mov_b32_e32 v1, s13
	s_waitcnt vmcnt(0)
	global_atomic_cmpswap_x2 v[0:1], v10, v[0:3], s[10:11] offset:32 glc
	s_waitcnt vmcnt(0)
	v_cmp_eq_u64_e32 vcc, v[0:1], v[2:3]
	v_mov_b32_e32 v3, v1
	s_or_b64 s[18:19], vcc, s[18:19]
	v_mov_b32_e32 v2, v0
	s_andn2_b64 exec, exec, s[18:19]
	s_cbranch_execnz .LBB6_130
.LBB6_131:
	s_or_b64 exec, exec, s[16:17]
	v_mov_b32_e32 v3, 0
	global_load_dwordx2 v[0:1], v3, s[10:11] offset:16
	s_mov_b64 s[16:17], exec
	v_mbcnt_lo_u32_b32 v2, s16, 0
	v_mbcnt_hi_u32_b32 v2, s17, v2
	v_cmp_eq_u32_e32 vcc, 0, v2
	s_and_saveexec_b64 s[18:19], vcc
	s_cbranch_execz .LBB6_133
; %bb.132:
	s_bcnt1_i32_b64 s16, s[16:17]
	v_mov_b32_e32 v2, s16
	s_waitcnt vmcnt(0)
	global_atomic_add_x2 v[0:1], v[2:3], off offset:8
.LBB6_133:
	s_or_b64 exec, exec, s[18:19]
	s_waitcnt vmcnt(0)
	global_load_dwordx2 v[2:3], v[0:1], off offset:16
	s_waitcnt vmcnt(0)
	v_cmp_eq_u64_e32 vcc, 0, v[2:3]
	s_cbranch_vccnz .LBB6_135
; %bb.134:
	global_load_dword v0, v[0:1], off offset:24
	v_mov_b32_e32 v1, 0
	s_waitcnt vmcnt(0)
	v_readfirstlane_b32 s16, v0
	s_and_b32 m0, s16, 0xffffff
	global_store_dwordx2 v[2:3], v[0:1], off
	s_sendmsg sendmsg(MSG_INTERRUPT)
.LBB6_135:
	s_or_b64 exec, exec, s[14:15]
	s_branch .LBB6_139
.LBB6_136:                              ;   in Loop: Header=BB6_139 Depth=1
	s_or_b64 exec, exec, s[14:15]
	v_readfirstlane_b32 s14, v0
	s_cmp_eq_u32 s14, 0
	s_cbranch_scc1 .LBB6_138
; %bb.137:                              ;   in Loop: Header=BB6_139 Depth=1
	s_sleep 1
	s_cbranch_execnz .LBB6_139
	s_branch .LBB6_141
.LBB6_138:
	s_branch .LBB6_141
.LBB6_139:                              ; =>This Inner Loop Header: Depth=1
	v_mov_b32_e32 v0, 1
	s_and_saveexec_b64 s[14:15], s[2:3]
	s_cbranch_execz .LBB6_136
; %bb.140:                              ;   in Loop: Header=BB6_139 Depth=1
	global_load_dword v0, v[8:9], off offset:20 glc
	s_waitcnt vmcnt(0)
	buffer_wbinvl1_vol
	v_and_b32_e32 v0, 1, v0
	s_branch .LBB6_136
.LBB6_141:
	global_load_dwordx2 v[2:3], v[6:7], off
	s_and_saveexec_b64 s[14:15], s[2:3]
	s_cbranch_execz .LBB6_144
; %bb.142:
	v_mov_b32_e32 v8, 0
	global_load_dwordx2 v[0:1], v8, s[10:11] offset:40
	global_load_dwordx2 v[11:12], v8, s[10:11] offset:24 glc
	global_load_dwordx2 v[4:5], v8, s[10:11]
	s_waitcnt vmcnt(2)
	v_readfirstlane_b32 s16, v0
	v_readfirstlane_b32 s17, v1
	s_add_u32 s18, s16, 1
	s_addc_u32 s19, s17, 0
	s_add_u32 s2, s18, s12
	s_addc_u32 s3, s19, s13
	s_cmp_eq_u64 s[2:3], 0
	s_cselect_b32 s3, s19, s3
	s_cselect_b32 s2, s18, s2
	s_and_b64 s[12:13], s[2:3], s[16:17]
	s_mul_i32 s13, s13, 24
	s_mul_hi_u32 s16, s12, 24
	s_mul_i32 s12, s12, 24
	s_add_i32 s13, s16, s13
	v_mov_b32_e32 v1, s13
	s_waitcnt vmcnt(0)
	v_add_co_u32_e32 v0, vcc, s12, v4
	v_addc_co_u32_e32 v1, vcc, v5, v1, vcc
	v_mov_b32_e32 v9, s2
	global_store_dwordx2 v[0:1], v[11:12], off
	v_mov_b32_e32 v10, s3
	s_waitcnt vmcnt(0)
	global_atomic_cmpswap_x2 v[6:7], v8, v[9:12], s[10:11] offset:24 glc
	s_mov_b64 s[12:13], 0
	s_waitcnt vmcnt(0)
	v_cmp_ne_u64_e32 vcc, v[6:7], v[11:12]
	s_and_b64 exec, exec, vcc
	s_cbranch_execz .LBB6_144
.LBB6_143:                              ; =>This Inner Loop Header: Depth=1
	s_sleep 1
	global_store_dwordx2 v[0:1], v[6:7], off
	v_mov_b32_e32 v4, s2
	v_mov_b32_e32 v5, s3
	s_waitcnt vmcnt(0)
	global_atomic_cmpswap_x2 v[4:5], v8, v[4:7], s[10:11] offset:24 glc
	s_waitcnt vmcnt(0)
	v_cmp_eq_u64_e32 vcc, v[4:5], v[6:7]
	v_mov_b32_e32 v7, v5
	s_or_b64 s[12:13], vcc, s[12:13]
	v_mov_b32_e32 v6, v4
	s_andn2_b64 exec, exec, s[12:13]
	s_cbranch_execnz .LBB6_143
.LBB6_144:
	s_or_b64 exec, exec, s[14:15]
.LBB6_145:
	v_readfirstlane_b32 s2, v33
	s_waitcnt vmcnt(0)
	v_mov_b32_e32 v0, 0
	v_mov_b32_e32 v1, 0
	v_cmp_eq_u32_e64 s[2:3], s2, v33
	s_and_saveexec_b64 s[12:13], s[2:3]
	s_cbranch_execz .LBB6_151
; %bb.146:
	v_mov_b32_e32 v4, 0
	global_load_dwordx2 v[7:8], v4, s[10:11] offset:24 glc
	s_waitcnt vmcnt(0)
	buffer_wbinvl1_vol
	global_load_dwordx2 v[0:1], v4, s[10:11] offset:40
	global_load_dwordx2 v[5:6], v4, s[10:11]
	s_waitcnt vmcnt(1)
	v_and_b32_e32 v0, v0, v7
	v_and_b32_e32 v1, v1, v8
	v_mul_lo_u32 v1, v1, 24
	v_mul_hi_u32 v9, v0, 24
	v_mul_lo_u32 v0, v0, 24
	v_add_u32_e32 v1, v9, v1
	s_waitcnt vmcnt(0)
	v_add_co_u32_e32 v0, vcc, v5, v0
	v_addc_co_u32_e32 v1, vcc, v6, v1, vcc
	global_load_dwordx2 v[5:6], v[0:1], off glc
	s_waitcnt vmcnt(0)
	global_atomic_cmpswap_x2 v[0:1], v4, v[5:8], s[10:11] offset:24 glc
	s_waitcnt vmcnt(0)
	buffer_wbinvl1_vol
	v_cmp_ne_u64_e32 vcc, v[0:1], v[7:8]
	s_and_saveexec_b64 s[14:15], vcc
	s_cbranch_execz .LBB6_150
; %bb.147:
	s_mov_b64 s[16:17], 0
.LBB6_148:                              ; =>This Inner Loop Header: Depth=1
	s_sleep 1
	global_load_dwordx2 v[5:6], v4, s[10:11] offset:40
	global_load_dwordx2 v[9:10], v4, s[10:11]
	v_mov_b32_e32 v8, v1
	v_mov_b32_e32 v7, v0
	s_waitcnt vmcnt(1)
	v_and_b32_e32 v0, v5, v7
	s_waitcnt vmcnt(0)
	v_mad_u64_u32 v[0:1], s[18:19], v0, 24, v[9:10]
	v_and_b32_e32 v5, v6, v8
	v_mad_u64_u32 v[5:6], s[18:19], v5, 24, v[1:2]
	v_mov_b32_e32 v1, v5
	global_load_dwordx2 v[5:6], v[0:1], off glc
	s_waitcnt vmcnt(0)
	global_atomic_cmpswap_x2 v[0:1], v4, v[5:8], s[10:11] offset:24 glc
	s_waitcnt vmcnt(0)
	buffer_wbinvl1_vol
	v_cmp_eq_u64_e32 vcc, v[0:1], v[7:8]
	s_or_b64 s[16:17], vcc, s[16:17]
	s_andn2_b64 exec, exec, s[16:17]
	s_cbranch_execnz .LBB6_148
; %bb.149:
	s_or_b64 exec, exec, s[16:17]
.LBB6_150:
	s_or_b64 exec, exec, s[14:15]
.LBB6_151:
	s_or_b64 exec, exec, s[12:13]
	v_mov_b32_e32 v5, 0
	global_load_dwordx2 v[10:11], v5, s[10:11] offset:40
	global_load_dwordx4 v[6:9], v5, s[10:11]
	v_readfirstlane_b32 s13, v1
	v_readfirstlane_b32 s12, v0
	s_mov_b64 s[14:15], exec
	s_waitcnt vmcnt(1)
	v_readfirstlane_b32 s16, v10
	v_readfirstlane_b32 s17, v11
	s_and_b64 s[16:17], s[16:17], s[12:13]
	s_mul_i32 s18, s17, 24
	s_mul_hi_u32 s19, s16, 24
	s_mul_i32 s20, s16, 24
	s_add_i32 s18, s19, s18
	v_mov_b32_e32 v0, s18
	s_waitcnt vmcnt(0)
	v_add_co_u32_e32 v10, vcc, s20, v6
	v_addc_co_u32_e32 v11, vcc, v7, v0, vcc
	s_and_saveexec_b64 s[18:19], s[2:3]
	s_cbranch_execz .LBB6_153
; %bb.152:
	v_mov_b32_e32 v12, s14
	v_mov_b32_e32 v13, s15
	;; [unrolled: 1-line block ×4, first 2 shown]
	global_store_dwordx4 v[10:11], v[12:15], off offset:8
.LBB6_153:
	s_or_b64 exec, exec, s[18:19]
	s_lshl_b64 s[14:15], s[16:17], 12
	v_mov_b32_e32 v0, s15
	v_add_co_u32_e32 v1, vcc, s14, v8
	v_addc_co_u32_e32 v0, vcc, v9, v0, vcc
	s_add_i32 s20, s26, -1
	s_movk_i32 s14, 0xff1f
	s_mov_b32 s16, 0
	v_and_or_b32 v2, v2, s14, 32
	v_add_co_u32_e32 v8, vcc, v1, v32
	v_mov_b32_e32 v4, s20
	v_readfirstlane_b32 s14, v1
	v_readfirstlane_b32 s15, v0
	v_addc_co_u32_e32 v9, vcc, 0, v0, vcc
	s_mov_b32 s17, s16
	s_mov_b32 s18, s16
	;; [unrolled: 1-line block ×3, first 2 shown]
	s_nop 0
	global_store_dwordx4 v32, v[2:5], s[14:15]
	v_mov_b32_e32 v0, s16
	v_mov_b32_e32 v1, s17
	;; [unrolled: 1-line block ×4, first 2 shown]
	global_store_dwordx4 v32, v[0:3], s[14:15] offset:16
	global_store_dwordx4 v32, v[0:3], s[14:15] offset:32
	;; [unrolled: 1-line block ×3, first 2 shown]
	s_and_saveexec_b64 s[14:15], s[2:3]
	s_cbranch_execz .LBB6_161
; %bb.154:
	v_mov_b32_e32 v12, 0
	global_load_dwordx2 v[15:16], v12, s[10:11] offset:32 glc
	global_load_dwordx2 v[0:1], v12, s[10:11] offset:40
	v_mov_b32_e32 v13, s12
	v_mov_b32_e32 v14, s13
	s_waitcnt vmcnt(0)
	v_readfirstlane_b32 s16, v0
	v_readfirstlane_b32 s17, v1
	s_and_b64 s[16:17], s[16:17], s[12:13]
	s_mul_i32 s17, s17, 24
	s_mul_hi_u32 s18, s16, 24
	s_mul_i32 s16, s16, 24
	s_add_i32 s17, s18, s17
	v_mov_b32_e32 v0, s17
	v_add_co_u32_e32 v4, vcc, s16, v6
	v_addc_co_u32_e32 v5, vcc, v7, v0, vcc
	global_store_dwordx2 v[4:5], v[15:16], off
	s_waitcnt vmcnt(0)
	global_atomic_cmpswap_x2 v[2:3], v12, v[13:16], s[10:11] offset:32 glc
	s_waitcnt vmcnt(0)
	v_cmp_ne_u64_e32 vcc, v[2:3], v[15:16]
	s_and_saveexec_b64 s[16:17], vcc
	s_cbranch_execz .LBB6_157
; %bb.155:
	s_mov_b64 s[18:19], 0
.LBB6_156:                              ; =>This Inner Loop Header: Depth=1
	s_sleep 1
	global_store_dwordx2 v[4:5], v[2:3], off
	v_mov_b32_e32 v0, s12
	v_mov_b32_e32 v1, s13
	s_waitcnt vmcnt(0)
	global_atomic_cmpswap_x2 v[0:1], v12, v[0:3], s[10:11] offset:32 glc
	s_waitcnt vmcnt(0)
	v_cmp_eq_u64_e32 vcc, v[0:1], v[2:3]
	v_mov_b32_e32 v3, v1
	s_or_b64 s[18:19], vcc, s[18:19]
	v_mov_b32_e32 v2, v0
	s_andn2_b64 exec, exec, s[18:19]
	s_cbranch_execnz .LBB6_156
.LBB6_157:
	s_or_b64 exec, exec, s[16:17]
	v_mov_b32_e32 v3, 0
	global_load_dwordx2 v[0:1], v3, s[10:11] offset:16
	s_mov_b64 s[16:17], exec
	v_mbcnt_lo_u32_b32 v2, s16, 0
	v_mbcnt_hi_u32_b32 v2, s17, v2
	v_cmp_eq_u32_e32 vcc, 0, v2
	s_and_saveexec_b64 s[18:19], vcc
	s_cbranch_execz .LBB6_159
; %bb.158:
	s_bcnt1_i32_b64 s16, s[16:17]
	v_mov_b32_e32 v2, s16
	s_waitcnt vmcnt(0)
	global_atomic_add_x2 v[0:1], v[2:3], off offset:8
.LBB6_159:
	s_or_b64 exec, exec, s[18:19]
	s_waitcnt vmcnt(0)
	global_load_dwordx2 v[2:3], v[0:1], off offset:16
	s_waitcnt vmcnt(0)
	v_cmp_eq_u64_e32 vcc, 0, v[2:3]
	s_cbranch_vccnz .LBB6_161
; %bb.160:
	global_load_dword v0, v[0:1], off offset:24
	v_mov_b32_e32 v1, 0
	s_waitcnt vmcnt(0)
	v_readfirstlane_b32 s16, v0
	s_and_b32 m0, s16, 0xffffff
	global_store_dwordx2 v[2:3], v[0:1], off
	s_sendmsg sendmsg(MSG_INTERRUPT)
.LBB6_161:
	s_or_b64 exec, exec, s[14:15]
	s_branch .LBB6_165
.LBB6_162:                              ;   in Loop: Header=BB6_165 Depth=1
	s_or_b64 exec, exec, s[14:15]
	v_readfirstlane_b32 s14, v0
	s_cmp_eq_u32 s14, 0
	s_cbranch_scc1 .LBB6_164
; %bb.163:                              ;   in Loop: Header=BB6_165 Depth=1
	s_sleep 1
	s_cbranch_execnz .LBB6_165
	s_branch .LBB6_167
.LBB6_164:
	s_branch .LBB6_167
.LBB6_165:                              ; =>This Inner Loop Header: Depth=1
	v_mov_b32_e32 v0, 1
	s_and_saveexec_b64 s[14:15], s[2:3]
	s_cbranch_execz .LBB6_162
; %bb.166:                              ;   in Loop: Header=BB6_165 Depth=1
	global_load_dword v0, v[10:11], off offset:20 glc
	s_waitcnt vmcnt(0)
	buffer_wbinvl1_vol
	v_and_b32_e32 v0, 1, v0
	s_branch .LBB6_162
.LBB6_167:
	global_load_dwordx2 v[0:1], v[8:9], off
	s_and_saveexec_b64 s[14:15], s[2:3]
	s_cbranch_execz .LBB6_170
; %bb.168:
	v_mov_b32_e32 v8, 0
	global_load_dwordx2 v[2:3], v8, s[10:11] offset:40
	global_load_dwordx2 v[11:12], v8, s[10:11] offset:24 glc
	global_load_dwordx2 v[4:5], v8, s[10:11]
	s_waitcnt vmcnt(2)
	v_readfirstlane_b32 s16, v2
	v_readfirstlane_b32 s17, v3
	s_add_u32 s18, s16, 1
	s_addc_u32 s19, s17, 0
	s_add_u32 s2, s18, s12
	s_addc_u32 s3, s19, s13
	s_cmp_eq_u64 s[2:3], 0
	s_cselect_b32 s3, s19, s3
	s_cselect_b32 s2, s18, s2
	s_and_b64 s[12:13], s[2:3], s[16:17]
	s_mul_i32 s13, s13, 24
	s_mul_hi_u32 s16, s12, 24
	s_mul_i32 s12, s12, 24
	s_add_i32 s13, s16, s13
	v_mov_b32_e32 v2, s13
	s_waitcnt vmcnt(0)
	v_add_co_u32_e32 v6, vcc, s12, v4
	v_addc_co_u32_e32 v7, vcc, v5, v2, vcc
	v_mov_b32_e32 v9, s2
	global_store_dwordx2 v[6:7], v[11:12], off
	v_mov_b32_e32 v10, s3
	s_waitcnt vmcnt(0)
	global_atomic_cmpswap_x2 v[4:5], v8, v[9:12], s[10:11] offset:24 glc
	s_mov_b64 s[12:13], 0
	s_waitcnt vmcnt(0)
	v_cmp_ne_u64_e32 vcc, v[4:5], v[11:12]
	s_and_b64 exec, exec, vcc
	s_cbranch_execz .LBB6_170
.LBB6_169:                              ; =>This Inner Loop Header: Depth=1
	s_sleep 1
	global_store_dwordx2 v[6:7], v[4:5], off
	v_mov_b32_e32 v2, s2
	v_mov_b32_e32 v3, s3
	s_waitcnt vmcnt(0)
	global_atomic_cmpswap_x2 v[2:3], v8, v[2:5], s[10:11] offset:24 glc
	s_waitcnt vmcnt(0)
	v_cmp_eq_u64_e32 vcc, v[2:3], v[4:5]
	v_mov_b32_e32 v5, v3
	s_or_b64 s[12:13], vcc, s[12:13]
	v_mov_b32_e32 v4, v2
	s_andn2_b64 exec, exec, s[12:13]
	s_cbranch_execnz .LBB6_169
.LBB6_170:
	s_or_b64 exec, exec, s[14:15]
	v_readfirstlane_b32 s2, v33
	v_mov_b32_e32 v8, 0
	v_mov_b32_e32 v9, 0
	v_cmp_eq_u32_e64 s[2:3], s2, v33
	s_and_saveexec_b64 s[12:13], s[2:3]
	s_cbranch_execz .LBB6_176
; %bb.171:
	v_mov_b32_e32 v2, 0
	global_load_dwordx2 v[5:6], v2, s[10:11] offset:24 glc
	s_waitcnt vmcnt(0)
	buffer_wbinvl1_vol
	global_load_dwordx2 v[3:4], v2, s[10:11] offset:40
	global_load_dwordx2 v[7:8], v2, s[10:11]
	s_waitcnt vmcnt(1)
	v_and_b32_e32 v3, v3, v5
	v_and_b32_e32 v4, v4, v6
	v_mul_lo_u32 v4, v4, 24
	v_mul_hi_u32 v9, v3, 24
	v_mul_lo_u32 v3, v3, 24
	v_add_u32_e32 v4, v9, v4
	s_waitcnt vmcnt(0)
	v_add_co_u32_e32 v3, vcc, v7, v3
	v_addc_co_u32_e32 v4, vcc, v8, v4, vcc
	global_load_dwordx2 v[3:4], v[3:4], off glc
	s_waitcnt vmcnt(0)
	global_atomic_cmpswap_x2 v[8:9], v2, v[3:6], s[10:11] offset:24 glc
	s_waitcnt vmcnt(0)
	buffer_wbinvl1_vol
	v_cmp_ne_u64_e32 vcc, v[8:9], v[5:6]
	s_and_saveexec_b64 s[14:15], vcc
	s_cbranch_execz .LBB6_175
; %bb.172:
	s_mov_b64 s[16:17], 0
.LBB6_173:                              ; =>This Inner Loop Header: Depth=1
	s_sleep 1
	global_load_dwordx2 v[3:4], v2, s[10:11] offset:40
	global_load_dwordx2 v[10:11], v2, s[10:11]
	v_mov_b32_e32 v5, v8
	v_mov_b32_e32 v6, v9
	s_waitcnt vmcnt(1)
	v_and_b32_e32 v3, v3, v5
	s_waitcnt vmcnt(0)
	v_mad_u64_u32 v[7:8], s[18:19], v3, 24, v[10:11]
	v_and_b32_e32 v4, v4, v6
	v_mov_b32_e32 v3, v8
	v_mad_u64_u32 v[3:4], s[18:19], v4, 24, v[3:4]
	v_mov_b32_e32 v8, v3
	global_load_dwordx2 v[3:4], v[7:8], off glc
	s_waitcnt vmcnt(0)
	global_atomic_cmpswap_x2 v[8:9], v2, v[3:6], s[10:11] offset:24 glc
	s_waitcnt vmcnt(0)
	buffer_wbinvl1_vol
	v_cmp_eq_u64_e32 vcc, v[8:9], v[5:6]
	s_or_b64 s[16:17], vcc, s[16:17]
	s_andn2_b64 exec, exec, s[16:17]
	s_cbranch_execnz .LBB6_173
; %bb.174:
	s_or_b64 exec, exec, s[16:17]
.LBB6_175:
	s_or_b64 exec, exec, s[14:15]
.LBB6_176:
	s_or_b64 exec, exec, s[12:13]
	v_mov_b32_e32 v3, 0
	global_load_dwordx2 v[10:11], v3, s[10:11] offset:40
	global_load_dwordx4 v[4:7], v3, s[10:11]
	v_readfirstlane_b32 s13, v9
	v_readfirstlane_b32 s12, v8
	s_mov_b64 s[14:15], exec
	s_waitcnt vmcnt(1)
	v_readfirstlane_b32 s16, v10
	v_readfirstlane_b32 s17, v11
	s_and_b64 s[16:17], s[16:17], s[12:13]
	s_mul_i32 s18, s17, 24
	s_mul_hi_u32 s19, s16, 24
	s_mul_i32 s21, s16, 24
	s_add_i32 s18, s19, s18
	v_mov_b32_e32 v2, s18
	s_waitcnt vmcnt(0)
	v_add_co_u32_e32 v8, vcc, s21, v4
	v_addc_co_u32_e32 v9, vcc, v5, v2, vcc
	s_and_saveexec_b64 s[18:19], s[2:3]
	s_cbranch_execz .LBB6_178
; %bb.177:
	v_mov_b32_e32 v10, s14
	v_mov_b32_e32 v11, s15
	;; [unrolled: 1-line block ×4, first 2 shown]
	global_store_dwordx4 v[8:9], v[10:13], off offset:8
.LBB6_178:
	s_or_b64 exec, exec, s[18:19]
	s_lshl_b64 s[14:15], s[16:17], 12
	v_mov_b32_e32 v2, s15
	v_add_co_u32_e32 v10, vcc, s14, v6
	v_addc_co_u32_e32 v11, vcc, v7, v2, vcc
	v_cndmask_b32_e64 v2, -1, v34, s[0:1]
	s_movk_i32 s0, 0xff1f
	v_and_or_b32 v0, v0, s0, 32
	v_readfirstlane_b32 s0, v10
	v_readfirstlane_b32 s1, v11
	s_mov_b32 s16, 0
	v_add_co_u32_e32 v6, vcc, v10, v32
	s_mov_b32 s17, s16
	s_mov_b32 s18, s16
	s_nop 0
	global_store_dwordx4 v32, v[0:3], s[0:1]
	s_mov_b32 s19, s16
	v_mov_b32_e32 v0, s16
	v_addc_co_u32_e32 v7, vcc, 0, v11, vcc
	v_mov_b32_e32 v1, s17
	v_mov_b32_e32 v2, s18
	;; [unrolled: 1-line block ×3, first 2 shown]
	global_store_dwordx4 v32, v[0:3], s[0:1] offset:16
	global_store_dwordx4 v32, v[0:3], s[0:1] offset:32
	;; [unrolled: 1-line block ×3, first 2 shown]
	s_and_saveexec_b64 s[0:1], s[2:3]
	s_cbranch_execz .LBB6_186
; %bb.179:
	v_mov_b32_e32 v10, 0
	global_load_dwordx2 v[13:14], v10, s[10:11] offset:32 glc
	global_load_dwordx2 v[0:1], v10, s[10:11] offset:40
	v_mov_b32_e32 v11, s12
	v_mov_b32_e32 v12, s13
	s_waitcnt vmcnt(0)
	v_readfirstlane_b32 s14, v0
	v_readfirstlane_b32 s15, v1
	s_and_b64 s[14:15], s[14:15], s[12:13]
	s_mul_i32 s15, s15, 24
	s_mul_hi_u32 s16, s14, 24
	s_mul_i32 s14, s14, 24
	s_add_i32 s15, s16, s15
	v_mov_b32_e32 v0, s15
	v_add_co_u32_e32 v4, vcc, s14, v4
	v_addc_co_u32_e32 v5, vcc, v5, v0, vcc
	global_store_dwordx2 v[4:5], v[13:14], off
	s_waitcnt vmcnt(0)
	global_atomic_cmpswap_x2 v[2:3], v10, v[11:14], s[10:11] offset:32 glc
	s_waitcnt vmcnt(0)
	v_cmp_ne_u64_e32 vcc, v[2:3], v[13:14]
	s_and_saveexec_b64 s[14:15], vcc
	s_cbranch_execz .LBB6_182
; %bb.180:
	s_mov_b64 s[16:17], 0
.LBB6_181:                              ; =>This Inner Loop Header: Depth=1
	s_sleep 1
	global_store_dwordx2 v[4:5], v[2:3], off
	v_mov_b32_e32 v0, s12
	v_mov_b32_e32 v1, s13
	s_waitcnt vmcnt(0)
	global_atomic_cmpswap_x2 v[0:1], v10, v[0:3], s[10:11] offset:32 glc
	s_waitcnt vmcnt(0)
	v_cmp_eq_u64_e32 vcc, v[0:1], v[2:3]
	v_mov_b32_e32 v3, v1
	s_or_b64 s[16:17], vcc, s[16:17]
	v_mov_b32_e32 v2, v0
	s_andn2_b64 exec, exec, s[16:17]
	s_cbranch_execnz .LBB6_181
.LBB6_182:
	s_or_b64 exec, exec, s[14:15]
	v_mov_b32_e32 v3, 0
	global_load_dwordx2 v[0:1], v3, s[10:11] offset:16
	s_mov_b64 s[14:15], exec
	v_mbcnt_lo_u32_b32 v2, s14, 0
	v_mbcnt_hi_u32_b32 v2, s15, v2
	v_cmp_eq_u32_e32 vcc, 0, v2
	s_and_saveexec_b64 s[16:17], vcc
	s_cbranch_execz .LBB6_184
; %bb.183:
	s_bcnt1_i32_b64 s14, s[14:15]
	v_mov_b32_e32 v2, s14
	s_waitcnt vmcnt(0)
	global_atomic_add_x2 v[0:1], v[2:3], off offset:8
.LBB6_184:
	s_or_b64 exec, exec, s[16:17]
	s_waitcnt vmcnt(0)
	global_load_dwordx2 v[2:3], v[0:1], off offset:16
	s_waitcnt vmcnt(0)
	v_cmp_eq_u64_e32 vcc, 0, v[2:3]
	s_cbranch_vccnz .LBB6_186
; %bb.185:
	global_load_dword v0, v[0:1], off offset:24
	v_mov_b32_e32 v1, 0
	s_waitcnt vmcnt(0)
	v_readfirstlane_b32 s14, v0
	s_and_b32 m0, s14, 0xffffff
	global_store_dwordx2 v[2:3], v[0:1], off
	s_sendmsg sendmsg(MSG_INTERRUPT)
.LBB6_186:
	s_or_b64 exec, exec, s[0:1]
	s_branch .LBB6_190
.LBB6_187:                              ;   in Loop: Header=BB6_190 Depth=1
	s_or_b64 exec, exec, s[0:1]
	v_readfirstlane_b32 s0, v0
	s_cmp_eq_u32 s0, 0
	s_cbranch_scc1 .LBB6_189
; %bb.188:                              ;   in Loop: Header=BB6_190 Depth=1
	s_sleep 1
	s_cbranch_execnz .LBB6_190
	s_branch .LBB6_192
.LBB6_189:
	s_branch .LBB6_192
.LBB6_190:                              ; =>This Inner Loop Header: Depth=1
	v_mov_b32_e32 v0, 1
	s_and_saveexec_b64 s[0:1], s[2:3]
	s_cbranch_execz .LBB6_187
; %bb.191:                              ;   in Loop: Header=BB6_190 Depth=1
	global_load_dword v0, v[8:9], off offset:20 glc
	s_waitcnt vmcnt(0)
	buffer_wbinvl1_vol
	v_and_b32_e32 v0, 1, v0
	s_branch .LBB6_187
.LBB6_192:
	global_load_dwordx2 v[0:1], v[6:7], off
	s_and_saveexec_b64 s[0:1], s[2:3]
	s_cbranch_execz .LBB6_195
; %bb.193:
	v_mov_b32_e32 v8, 0
	global_load_dwordx2 v[2:3], v8, s[10:11] offset:40
	global_load_dwordx2 v[11:12], v8, s[10:11] offset:24 glc
	global_load_dwordx2 v[4:5], v8, s[10:11]
	s_waitcnt vmcnt(2)
	v_readfirstlane_b32 s14, v2
	v_readfirstlane_b32 s15, v3
	s_add_u32 s16, s14, 1
	s_addc_u32 s17, s15, 0
	s_add_u32 s2, s16, s12
	s_addc_u32 s3, s17, s13
	s_cmp_eq_u64 s[2:3], 0
	s_cselect_b32 s3, s17, s3
	s_cselect_b32 s2, s16, s2
	s_and_b64 s[12:13], s[2:3], s[14:15]
	s_mul_i32 s13, s13, 24
	s_mul_hi_u32 s14, s12, 24
	s_mul_i32 s12, s12, 24
	s_add_i32 s13, s14, s13
	v_mov_b32_e32 v2, s13
	s_waitcnt vmcnt(0)
	v_add_co_u32_e32 v6, vcc, s12, v4
	v_addc_co_u32_e32 v7, vcc, v5, v2, vcc
	v_mov_b32_e32 v9, s2
	global_store_dwordx2 v[6:7], v[11:12], off
	v_mov_b32_e32 v10, s3
	s_waitcnt vmcnt(0)
	global_atomic_cmpswap_x2 v[4:5], v8, v[9:12], s[10:11] offset:24 glc
	s_mov_b64 s[12:13], 0
	s_waitcnt vmcnt(0)
	v_cmp_ne_u64_e32 vcc, v[4:5], v[11:12]
	s_and_b64 exec, exec, vcc
	s_cbranch_execz .LBB6_195
.LBB6_194:                              ; =>This Inner Loop Header: Depth=1
	s_sleep 1
	global_store_dwordx2 v[6:7], v[4:5], off
	v_mov_b32_e32 v2, s2
	v_mov_b32_e32 v3, s3
	s_waitcnt vmcnt(0)
	global_atomic_cmpswap_x2 v[2:3], v8, v[2:5], s[10:11] offset:24 glc
	s_waitcnt vmcnt(0)
	v_cmp_eq_u64_e32 vcc, v[2:3], v[4:5]
	v_mov_b32_e32 v5, v3
	s_or_b64 s[12:13], vcc, s[12:13]
	v_mov_b32_e32 v4, v2
	s_andn2_b64 exec, exec, s[12:13]
	s_cbranch_execnz .LBB6_194
.LBB6_195:
	s_or_b64 exec, exec, s[0:1]
	v_readfirstlane_b32 s0, v33
	v_mov_b32_e32 v8, 0
	v_mov_b32_e32 v9, 0
	v_cmp_eq_u32_e64 s[0:1], s0, v33
	s_and_saveexec_b64 s[2:3], s[0:1]
	s_cbranch_execz .LBB6_201
; %bb.196:
	v_mov_b32_e32 v2, 0
	global_load_dwordx2 v[5:6], v2, s[10:11] offset:24 glc
	s_waitcnt vmcnt(0)
	buffer_wbinvl1_vol
	global_load_dwordx2 v[3:4], v2, s[10:11] offset:40
	global_load_dwordx2 v[7:8], v2, s[10:11]
	s_waitcnt vmcnt(1)
	v_and_b32_e32 v3, v3, v5
	v_and_b32_e32 v4, v4, v6
	v_mul_lo_u32 v4, v4, 24
	v_mul_hi_u32 v9, v3, 24
	v_mul_lo_u32 v3, v3, 24
	v_add_u32_e32 v4, v9, v4
	s_waitcnt vmcnt(0)
	v_add_co_u32_e32 v3, vcc, v7, v3
	v_addc_co_u32_e32 v4, vcc, v8, v4, vcc
	global_load_dwordx2 v[3:4], v[3:4], off glc
	s_waitcnt vmcnt(0)
	global_atomic_cmpswap_x2 v[8:9], v2, v[3:6], s[10:11] offset:24 glc
	s_waitcnt vmcnt(0)
	buffer_wbinvl1_vol
	v_cmp_ne_u64_e32 vcc, v[8:9], v[5:6]
	s_and_saveexec_b64 s[12:13], vcc
	s_cbranch_execz .LBB6_200
; %bb.197:
	s_mov_b64 s[14:15], 0
.LBB6_198:                              ; =>This Inner Loop Header: Depth=1
	s_sleep 1
	global_load_dwordx2 v[3:4], v2, s[10:11] offset:40
	global_load_dwordx2 v[10:11], v2, s[10:11]
	v_mov_b32_e32 v5, v8
	v_mov_b32_e32 v6, v9
	s_waitcnt vmcnt(1)
	v_and_b32_e32 v3, v3, v5
	s_waitcnt vmcnt(0)
	v_mad_u64_u32 v[7:8], s[16:17], v3, 24, v[10:11]
	v_and_b32_e32 v4, v4, v6
	v_mov_b32_e32 v3, v8
	v_mad_u64_u32 v[3:4], s[16:17], v4, 24, v[3:4]
	v_mov_b32_e32 v8, v3
	global_load_dwordx2 v[3:4], v[7:8], off glc
	s_waitcnt vmcnt(0)
	global_atomic_cmpswap_x2 v[8:9], v2, v[3:6], s[10:11] offset:24 glc
	s_waitcnt vmcnt(0)
	buffer_wbinvl1_vol
	v_cmp_eq_u64_e32 vcc, v[8:9], v[5:6]
	s_or_b64 s[14:15], vcc, s[14:15]
	s_andn2_b64 exec, exec, s[14:15]
	s_cbranch_execnz .LBB6_198
; %bb.199:
	s_or_b64 exec, exec, s[14:15]
.LBB6_200:
	s_or_b64 exec, exec, s[12:13]
.LBB6_201:
	s_or_b64 exec, exec, s[2:3]
	v_mov_b32_e32 v3, 0
	global_load_dwordx2 v[10:11], v3, s[10:11] offset:40
	global_load_dwordx4 v[4:7], v3, s[10:11]
	v_readfirstlane_b32 s3, v9
	v_readfirstlane_b32 s2, v8
	s_mov_b64 s[12:13], exec
	s_waitcnt vmcnt(1)
	v_readfirstlane_b32 s14, v10
	v_readfirstlane_b32 s15, v11
	s_and_b64 s[14:15], s[14:15], s[2:3]
	s_mul_i32 s16, s15, 24
	s_mul_hi_u32 s17, s14, 24
	s_mul_i32 s18, s14, 24
	s_add_i32 s16, s17, s16
	v_mov_b32_e32 v2, s16
	s_waitcnt vmcnt(0)
	v_add_co_u32_e32 v8, vcc, s18, v4
	v_addc_co_u32_e32 v9, vcc, v5, v2, vcc
	s_and_saveexec_b64 s[16:17], s[0:1]
	s_cbranch_execz .LBB6_203
; %bb.202:
	v_mov_b32_e32 v10, s12
	v_mov_b32_e32 v11, s13
	;; [unrolled: 1-line block ×4, first 2 shown]
	global_store_dwordx4 v[8:9], v[10:13], off offset:8
.LBB6_203:
	s_or_b64 exec, exec, s[16:17]
	s_lshl_b64 s[12:13], s[14:15], 12
	v_mov_b32_e32 v2, s13
	v_add_co_u32_e32 v6, vcc, s12, v6
	s_mul_i32 s20, s20, s26
	v_addc_co_u32_e32 v7, vcc, v7, v2, vcc
	s_lshr_b32 s13, s20, 1
	s_movk_i32 s14, 0xff1d
	s_mov_b32 s12, 0
	v_and_or_b32 v0, v0, s14, 34
	v_mov_b32_e32 v2, s13
	v_readfirstlane_b32 s16, v6
	v_readfirstlane_b32 s17, v7
	s_mov_b32 s13, s12
	s_mov_b32 s14, s12
	;; [unrolled: 1-line block ×3, first 2 shown]
	s_nop 1
	global_store_dwordx4 v32, v[0:3], s[16:17]
	s_nop 0
	v_mov_b32_e32 v0, s12
	v_mov_b32_e32 v1, s13
	v_mov_b32_e32 v2, s14
	v_mov_b32_e32 v3, s15
	global_store_dwordx4 v32, v[0:3], s[16:17] offset:16
	global_store_dwordx4 v32, v[0:3], s[16:17] offset:32
	;; [unrolled: 1-line block ×3, first 2 shown]
	s_and_saveexec_b64 s[12:13], s[0:1]
	s_cbranch_execz .LBB6_211
; %bb.204:
	v_mov_b32_e32 v6, 0
	global_load_dwordx2 v[12:13], v6, s[10:11] offset:32 glc
	global_load_dwordx2 v[0:1], v6, s[10:11] offset:40
	v_mov_b32_e32 v10, s2
	v_mov_b32_e32 v11, s3
	s_waitcnt vmcnt(0)
	v_readfirstlane_b32 s14, v0
	v_readfirstlane_b32 s15, v1
	s_and_b64 s[14:15], s[14:15], s[2:3]
	s_mul_i32 s15, s15, 24
	s_mul_hi_u32 s16, s14, 24
	s_mul_i32 s14, s14, 24
	s_add_i32 s15, s16, s15
	v_mov_b32_e32 v0, s15
	v_add_co_u32_e32 v4, vcc, s14, v4
	v_addc_co_u32_e32 v5, vcc, v5, v0, vcc
	global_store_dwordx2 v[4:5], v[12:13], off
	s_waitcnt vmcnt(0)
	global_atomic_cmpswap_x2 v[2:3], v6, v[10:13], s[10:11] offset:32 glc
	s_waitcnt vmcnt(0)
	v_cmp_ne_u64_e32 vcc, v[2:3], v[12:13]
	s_and_saveexec_b64 s[14:15], vcc
	s_cbranch_execz .LBB6_207
; %bb.205:
	s_mov_b64 s[16:17], 0
.LBB6_206:                              ; =>This Inner Loop Header: Depth=1
	s_sleep 1
	global_store_dwordx2 v[4:5], v[2:3], off
	v_mov_b32_e32 v0, s2
	v_mov_b32_e32 v1, s3
	s_waitcnt vmcnt(0)
	global_atomic_cmpswap_x2 v[0:1], v6, v[0:3], s[10:11] offset:32 glc
	s_waitcnt vmcnt(0)
	v_cmp_eq_u64_e32 vcc, v[0:1], v[2:3]
	v_mov_b32_e32 v3, v1
	s_or_b64 s[16:17], vcc, s[16:17]
	v_mov_b32_e32 v2, v0
	s_andn2_b64 exec, exec, s[16:17]
	s_cbranch_execnz .LBB6_206
.LBB6_207:
	s_or_b64 exec, exec, s[14:15]
	v_mov_b32_e32 v3, 0
	global_load_dwordx2 v[0:1], v3, s[10:11] offset:16
	s_mov_b64 s[14:15], exec
	v_mbcnt_lo_u32_b32 v2, s14, 0
	v_mbcnt_hi_u32_b32 v2, s15, v2
	v_cmp_eq_u32_e32 vcc, 0, v2
	s_and_saveexec_b64 s[16:17], vcc
	s_cbranch_execz .LBB6_209
; %bb.208:
	s_bcnt1_i32_b64 s14, s[14:15]
	v_mov_b32_e32 v2, s14
	s_waitcnt vmcnt(0)
	global_atomic_add_x2 v[0:1], v[2:3], off offset:8
.LBB6_209:
	s_or_b64 exec, exec, s[16:17]
	s_waitcnt vmcnt(0)
	global_load_dwordx2 v[2:3], v[0:1], off offset:16
	s_waitcnt vmcnt(0)
	v_cmp_eq_u64_e32 vcc, 0, v[2:3]
	s_cbranch_vccnz .LBB6_211
; %bb.210:
	global_load_dword v0, v[0:1], off offset:24
	v_mov_b32_e32 v1, 0
	s_waitcnt vmcnt(0)
	v_readfirstlane_b32 s14, v0
	s_and_b32 m0, s14, 0xffffff
	global_store_dwordx2 v[2:3], v[0:1], off
	s_sendmsg sendmsg(MSG_INTERRUPT)
.LBB6_211:
	s_or_b64 exec, exec, s[12:13]
	s_branch .LBB6_215
.LBB6_212:                              ;   in Loop: Header=BB6_215 Depth=1
	s_or_b64 exec, exec, s[12:13]
	v_readfirstlane_b32 s12, v0
	s_cmp_eq_u32 s12, 0
	s_cbranch_scc1 .LBB6_214
; %bb.213:                              ;   in Loop: Header=BB6_215 Depth=1
	s_sleep 1
	s_cbranch_execnz .LBB6_215
	s_branch .LBB6_217
.LBB6_214:
	s_branch .LBB6_217
.LBB6_215:                              ; =>This Inner Loop Header: Depth=1
	v_mov_b32_e32 v0, 1
	s_and_saveexec_b64 s[12:13], s[0:1]
	s_cbranch_execz .LBB6_212
; %bb.216:                              ;   in Loop: Header=BB6_215 Depth=1
	global_load_dword v0, v[8:9], off offset:20 glc
	s_waitcnt vmcnt(0)
	buffer_wbinvl1_vol
	v_and_b32_e32 v0, 1, v0
	s_branch .LBB6_212
.LBB6_217:
	s_and_saveexec_b64 s[12:13], s[0:1]
	s_cbranch_execz .LBB6_220
; %bb.218:
	v_mov_b32_e32 v6, 0
	global_load_dwordx2 v[0:1], v6, s[10:11] offset:40
	global_load_dwordx2 v[9:10], v6, s[10:11] offset:24 glc
	global_load_dwordx2 v[2:3], v6, s[10:11]
	s_waitcnt vmcnt(2)
	v_readfirstlane_b32 s14, v0
	v_readfirstlane_b32 s15, v1
	s_add_u32 s16, s14, 1
	s_addc_u32 s17, s15, 0
	s_add_u32 s0, s16, s2
	s_addc_u32 s1, s17, s3
	s_cmp_eq_u64 s[0:1], 0
	s_cselect_b32 s1, s17, s1
	s_cselect_b32 s0, s16, s0
	s_and_b64 s[2:3], s[0:1], s[14:15]
	s_mul_i32 s3, s3, 24
	s_mul_hi_u32 s14, s2, 24
	s_mul_i32 s2, s2, 24
	s_add_i32 s3, s14, s3
	v_mov_b32_e32 v0, s3
	s_waitcnt vmcnt(0)
	v_add_co_u32_e32 v4, vcc, s2, v2
	v_addc_co_u32_e32 v5, vcc, v3, v0, vcc
	v_mov_b32_e32 v7, s0
	global_store_dwordx2 v[4:5], v[9:10], off
	v_mov_b32_e32 v8, s1
	s_waitcnt vmcnt(0)
	global_atomic_cmpswap_x2 v[2:3], v6, v[7:10], s[10:11] offset:24 glc
	s_mov_b64 s[2:3], 0
	s_waitcnt vmcnt(0)
	v_cmp_ne_u64_e32 vcc, v[2:3], v[9:10]
	s_and_b64 exec, exec, vcc
	s_cbranch_execz .LBB6_220
.LBB6_219:                              ; =>This Inner Loop Header: Depth=1
	s_sleep 1
	global_store_dwordx2 v[4:5], v[2:3], off
	v_mov_b32_e32 v0, s0
	v_mov_b32_e32 v1, s1
	s_waitcnt vmcnt(0)
	global_atomic_cmpswap_x2 v[0:1], v6, v[0:3], s[10:11] offset:24 glc
	s_waitcnt vmcnt(0)
	v_cmp_eq_u64_e32 vcc, v[0:1], v[2:3]
	v_mov_b32_e32 v3, v1
	s_or_b64 s[2:3], vcc, s[2:3]
	v_mov_b32_e32 v2, v0
	s_andn2_b64 exec, exec, s[2:3]
	s_cbranch_execnz .LBB6_219
.LBB6_220:
	s_or_b64 exec, exec, s[12:13]
	v_readfirstlane_b32 s0, v33
	v_mov_b32_e32 v5, 0
	v_mov_b32_e32 v6, 0
	v_cmp_eq_u32_e64 s[0:1], s0, v33
	s_and_saveexec_b64 s[2:3], s[0:1]
	s_cbranch_execz .LBB6_226
; %bb.221:
	v_mov_b32_e32 v0, 0
	global_load_dwordx2 v[3:4], v0, s[10:11] offset:24 glc
	s_waitcnt vmcnt(0)
	buffer_wbinvl1_vol
	global_load_dwordx2 v[1:2], v0, s[10:11] offset:40
	global_load_dwordx2 v[5:6], v0, s[10:11]
	s_waitcnt vmcnt(1)
	v_and_b32_e32 v1, v1, v3
	v_and_b32_e32 v2, v2, v4
	v_mul_lo_u32 v2, v2, 24
	v_mul_hi_u32 v7, v1, 24
	v_mul_lo_u32 v1, v1, 24
	v_add_u32_e32 v2, v7, v2
	s_waitcnt vmcnt(0)
	v_add_co_u32_e32 v1, vcc, v5, v1
	v_addc_co_u32_e32 v2, vcc, v6, v2, vcc
	global_load_dwordx2 v[1:2], v[1:2], off glc
	s_waitcnt vmcnt(0)
	global_atomic_cmpswap_x2 v[5:6], v0, v[1:4], s[10:11] offset:24 glc
	s_waitcnt vmcnt(0)
	buffer_wbinvl1_vol
	v_cmp_ne_u64_e32 vcc, v[5:6], v[3:4]
	s_and_saveexec_b64 s[12:13], vcc
	s_cbranch_execz .LBB6_225
; %bb.222:
	s_mov_b64 s[14:15], 0
.LBB6_223:                              ; =>This Inner Loop Header: Depth=1
	s_sleep 1
	global_load_dwordx2 v[1:2], v0, s[10:11] offset:40
	global_load_dwordx2 v[7:8], v0, s[10:11]
	v_mov_b32_e32 v3, v5
	v_mov_b32_e32 v4, v6
	s_waitcnt vmcnt(1)
	v_and_b32_e32 v1, v1, v3
	s_waitcnt vmcnt(0)
	v_mad_u64_u32 v[5:6], s[16:17], v1, 24, v[7:8]
	v_and_b32_e32 v2, v2, v4
	v_mov_b32_e32 v1, v6
	v_mad_u64_u32 v[1:2], s[16:17], v2, 24, v[1:2]
	v_mov_b32_e32 v6, v1
	global_load_dwordx2 v[1:2], v[5:6], off glc
	s_waitcnt vmcnt(0)
	global_atomic_cmpswap_x2 v[5:6], v0, v[1:4], s[10:11] offset:24 glc
	s_waitcnt vmcnt(0)
	buffer_wbinvl1_vol
	v_cmp_eq_u64_e32 vcc, v[5:6], v[3:4]
	s_or_b64 s[14:15], vcc, s[14:15]
	s_andn2_b64 exec, exec, s[14:15]
	s_cbranch_execnz .LBB6_223
; %bb.224:
	s_or_b64 exec, exec, s[14:15]
.LBB6_225:
	s_or_b64 exec, exec, s[12:13]
.LBB6_226:
	s_or_b64 exec, exec, s[2:3]
	v_mov_b32_e32 v4, 0
	global_load_dwordx2 v[7:8], v4, s[10:11] offset:40
	global_load_dwordx4 v[0:3], v4, s[10:11]
	v_readfirstlane_b32 s3, v6
	v_readfirstlane_b32 s2, v5
	s_mov_b64 s[12:13], exec
	s_waitcnt vmcnt(1)
	v_readfirstlane_b32 s14, v7
	v_readfirstlane_b32 s15, v8
	s_and_b64 s[14:15], s[14:15], s[2:3]
	s_mul_i32 s16, s15, 24
	s_mul_hi_u32 s17, s14, 24
	s_mul_i32 s18, s14, 24
	s_add_i32 s16, s17, s16
	v_mov_b32_e32 v5, s16
	s_waitcnt vmcnt(0)
	v_add_co_u32_e32 v7, vcc, s18, v0
	v_addc_co_u32_e32 v8, vcc, v1, v5, vcc
	s_and_saveexec_b64 s[16:17], s[0:1]
	s_cbranch_execz .LBB6_228
; %bb.227:
	v_mov_b32_e32 v9, s12
	v_mov_b32_e32 v10, s13
	;; [unrolled: 1-line block ×4, first 2 shown]
	global_store_dwordx4 v[7:8], v[9:12], off offset:8
.LBB6_228:
	s_or_b64 exec, exec, s[16:17]
	s_lshl_b64 s[12:13], s[14:15], 12
	v_mov_b32_e32 v5, s13
	v_add_co_u32_e32 v2, vcc, s12, v2
	v_addc_co_u32_e32 v11, vcc, v3, v5, vcc
	s_mov_b32 s12, 0
	v_mov_b32_e32 v3, 33
	v_mov_b32_e32 v5, v4
	;; [unrolled: 1-line block ×3, first 2 shown]
	v_readfirstlane_b32 s16, v2
	v_readfirstlane_b32 s17, v11
	v_add_co_u32_e32 v9, vcc, v2, v32
	s_mov_b32 s13, s12
	s_mov_b32 s14, s12
	;; [unrolled: 1-line block ×3, first 2 shown]
	s_nop 0
	global_store_dwordx4 v32, v[3:6], s[16:17]
	v_mov_b32_e32 v2, s12
	v_addc_co_u32_e32 v10, vcc, 0, v11, vcc
	v_mov_b32_e32 v3, s13
	v_mov_b32_e32 v4, s14
	;; [unrolled: 1-line block ×3, first 2 shown]
	global_store_dwordx4 v32, v[2:5], s[16:17] offset:16
	global_store_dwordx4 v32, v[2:5], s[16:17] offset:32
	;; [unrolled: 1-line block ×3, first 2 shown]
	s_and_saveexec_b64 s[12:13], s[0:1]
	s_cbranch_execz .LBB6_236
; %bb.229:
	v_mov_b32_e32 v6, 0
	global_load_dwordx2 v[13:14], v6, s[10:11] offset:32 glc
	global_load_dwordx2 v[2:3], v6, s[10:11] offset:40
	v_mov_b32_e32 v11, s2
	v_mov_b32_e32 v12, s3
	s_waitcnt vmcnt(0)
	v_readfirstlane_b32 s14, v2
	v_readfirstlane_b32 s15, v3
	s_and_b64 s[14:15], s[14:15], s[2:3]
	s_mul_i32 s15, s15, 24
	s_mul_hi_u32 s16, s14, 24
	s_mul_i32 s14, s14, 24
	s_add_i32 s15, s16, s15
	v_mov_b32_e32 v2, s15
	v_add_co_u32_e32 v4, vcc, s14, v0
	v_addc_co_u32_e32 v5, vcc, v1, v2, vcc
	global_store_dwordx2 v[4:5], v[13:14], off
	s_waitcnt vmcnt(0)
	global_atomic_cmpswap_x2 v[2:3], v6, v[11:14], s[10:11] offset:32 glc
	s_waitcnt vmcnt(0)
	v_cmp_ne_u64_e32 vcc, v[2:3], v[13:14]
	s_and_saveexec_b64 s[14:15], vcc
	s_cbranch_execz .LBB6_232
; %bb.230:
	s_mov_b64 s[16:17], 0
.LBB6_231:                              ; =>This Inner Loop Header: Depth=1
	s_sleep 1
	global_store_dwordx2 v[4:5], v[2:3], off
	v_mov_b32_e32 v0, s2
	v_mov_b32_e32 v1, s3
	s_waitcnt vmcnt(0)
	global_atomic_cmpswap_x2 v[0:1], v6, v[0:3], s[10:11] offset:32 glc
	s_waitcnt vmcnt(0)
	v_cmp_eq_u64_e32 vcc, v[0:1], v[2:3]
	v_mov_b32_e32 v3, v1
	s_or_b64 s[16:17], vcc, s[16:17]
	v_mov_b32_e32 v2, v0
	s_andn2_b64 exec, exec, s[16:17]
	s_cbranch_execnz .LBB6_231
.LBB6_232:
	s_or_b64 exec, exec, s[14:15]
	v_mov_b32_e32 v3, 0
	global_load_dwordx2 v[0:1], v3, s[10:11] offset:16
	s_mov_b64 s[14:15], exec
	v_mbcnt_lo_u32_b32 v2, s14, 0
	v_mbcnt_hi_u32_b32 v2, s15, v2
	v_cmp_eq_u32_e32 vcc, 0, v2
	s_and_saveexec_b64 s[16:17], vcc
	s_cbranch_execz .LBB6_234
; %bb.233:
	s_bcnt1_i32_b64 s14, s[14:15]
	v_mov_b32_e32 v2, s14
	s_waitcnt vmcnt(0)
	global_atomic_add_x2 v[0:1], v[2:3], off offset:8
.LBB6_234:
	s_or_b64 exec, exec, s[16:17]
	s_waitcnt vmcnt(0)
	global_load_dwordx2 v[2:3], v[0:1], off offset:16
	s_waitcnt vmcnt(0)
	v_cmp_eq_u64_e32 vcc, 0, v[2:3]
	s_cbranch_vccnz .LBB6_236
; %bb.235:
	global_load_dword v0, v[0:1], off offset:24
	v_mov_b32_e32 v1, 0
	s_waitcnt vmcnt(0)
	v_readfirstlane_b32 s14, v0
	s_and_b32 m0, s14, 0xffffff
	global_store_dwordx2 v[2:3], v[0:1], off
	s_sendmsg sendmsg(MSG_INTERRUPT)
.LBB6_236:
	s_or_b64 exec, exec, s[12:13]
	s_branch .LBB6_240
.LBB6_237:                              ;   in Loop: Header=BB6_240 Depth=1
	s_or_b64 exec, exec, s[12:13]
	v_readfirstlane_b32 s12, v0
	s_cmp_eq_u32 s12, 0
	s_cbranch_scc1 .LBB6_239
; %bb.238:                              ;   in Loop: Header=BB6_240 Depth=1
	s_sleep 1
	s_cbranch_execnz .LBB6_240
	s_branch .LBB6_242
.LBB6_239:
	s_branch .LBB6_242
.LBB6_240:                              ; =>This Inner Loop Header: Depth=1
	v_mov_b32_e32 v0, 1
	s_and_saveexec_b64 s[12:13], s[0:1]
	s_cbranch_execz .LBB6_237
; %bb.241:                              ;   in Loop: Header=BB6_240 Depth=1
	global_load_dword v0, v[7:8], off offset:20 glc
	s_waitcnt vmcnt(0)
	buffer_wbinvl1_vol
	v_and_b32_e32 v0, 1, v0
	s_branch .LBB6_237
.LBB6_242:
	global_load_dwordx2 v[0:1], v[9:10], off
	s_and_saveexec_b64 s[12:13], s[0:1]
	s_cbranch_execz .LBB6_245
; %bb.243:
	v_mov_b32_e32 v8, 0
	global_load_dwordx2 v[2:3], v8, s[10:11] offset:40
	global_load_dwordx2 v[11:12], v8, s[10:11] offset:24 glc
	global_load_dwordx2 v[4:5], v8, s[10:11]
	s_waitcnt vmcnt(2)
	v_readfirstlane_b32 s14, v2
	v_readfirstlane_b32 s15, v3
	s_add_u32 s16, s14, 1
	s_addc_u32 s17, s15, 0
	s_add_u32 s0, s16, s2
	s_addc_u32 s1, s17, s3
	s_cmp_eq_u64 s[0:1], 0
	s_cselect_b32 s1, s17, s1
	s_cselect_b32 s0, s16, s0
	s_and_b64 s[2:3], s[0:1], s[14:15]
	s_mul_i32 s3, s3, 24
	s_mul_hi_u32 s14, s2, 24
	s_mul_i32 s2, s2, 24
	s_add_i32 s3, s14, s3
	v_mov_b32_e32 v2, s3
	s_waitcnt vmcnt(0)
	v_add_co_u32_e32 v6, vcc, s2, v4
	v_addc_co_u32_e32 v7, vcc, v5, v2, vcc
	v_mov_b32_e32 v9, s0
	global_store_dwordx2 v[6:7], v[11:12], off
	v_mov_b32_e32 v10, s1
	s_waitcnt vmcnt(0)
	global_atomic_cmpswap_x2 v[4:5], v8, v[9:12], s[10:11] offset:24 glc
	s_mov_b64 s[2:3], 0
	s_waitcnt vmcnt(0)
	v_cmp_ne_u64_e32 vcc, v[4:5], v[11:12]
	s_and_b64 exec, exec, vcc
	s_cbranch_execz .LBB6_245
.LBB6_244:                              ; =>This Inner Loop Header: Depth=1
	s_sleep 1
	global_store_dwordx2 v[6:7], v[4:5], off
	v_mov_b32_e32 v2, s0
	v_mov_b32_e32 v3, s1
	s_waitcnt vmcnt(0)
	global_atomic_cmpswap_x2 v[2:3], v8, v[2:5], s[10:11] offset:24 glc
	s_waitcnt vmcnt(0)
	v_cmp_eq_u64_e32 vcc, v[2:3], v[4:5]
	v_mov_b32_e32 v5, v3
	s_or_b64 s[2:3], vcc, s[2:3]
	v_mov_b32_e32 v4, v2
	s_andn2_b64 exec, exec, s[2:3]
	s_cbranch_execnz .LBB6_244
.LBB6_245:
	s_or_b64 exec, exec, s[12:13]
	s_getpc_b64 s[2:3]
	s_add_u32 s2, s2, .str.1@rel32@lo+4
	s_addc_u32 s3, s3, .str.1@rel32@hi+12
	s_cmp_lg_u64 s[2:3], 0
	s_cbranch_scc0 .LBB6_331
; %bb.246:
	s_waitcnt vmcnt(0)
	v_and_b32_e32 v34, 2, v0
	v_mov_b32_e32 v28, 0
	v_and_b32_e32 v2, -3, v0
	v_mov_b32_e32 v3, v1
	s_mov_b64 s[12:13], 48
	v_mov_b32_e32 v8, 2
	v_mov_b32_e32 v9, 1
	s_branch .LBB6_248
.LBB6_247:                              ;   in Loop: Header=BB6_248 Depth=1
	s_or_b64 exec, exec, s[18:19]
	s_sub_u32 s12, s12, s14
	s_subb_u32 s13, s13, s15
	s_add_u32 s2, s2, s14
	s_addc_u32 s3, s3, s15
	s_cmp_lg_u64 s[12:13], 0
	s_cbranch_scc0 .LBB6_330
.LBB6_248:                              ; =>This Loop Header: Depth=1
                                        ;     Child Loop BB6_251 Depth 2
                                        ;     Child Loop BB6_259 Depth 2
	;; [unrolled: 1-line block ×11, first 2 shown]
	v_cmp_lt_u64_e64 s[0:1], s[12:13], 56
	v_cmp_gt_u64_e64 s[16:17], s[12:13], 7
	s_and_b64 s[0:1], s[0:1], exec
	s_cselect_b32 s15, s13, 0
	s_cselect_b32 s14, s12, 56
	s_add_u32 s0, s2, 8
	s_addc_u32 s1, s3, 0
	s_and_b64 vcc, exec, s[16:17]
	s_cbranch_vccnz .LBB6_252
; %bb.249:                              ;   in Loop: Header=BB6_248 Depth=1
	s_cmp_eq_u64 s[12:13], 0
	s_cbranch_scc1 .LBB6_253
; %bb.250:                              ;   in Loop: Header=BB6_248 Depth=1
	v_mov_b32_e32 v4, 0
	s_lshl_b64 s[0:1], s[14:15], 3
	s_mov_b64 s[16:17], 0
	v_mov_b32_e32 v5, 0
	s_mov_b64 s[18:19], s[2:3]
.LBB6_251:                              ;   Parent Loop BB6_248 Depth=1
                                        ; =>  This Inner Loop Header: Depth=2
	global_load_ubyte v6, v28, s[18:19]
	s_waitcnt vmcnt(0)
	v_and_b32_e32 v27, 0xffff, v6
	v_lshlrev_b64 v[6:7], s16, v[27:28]
	s_add_u32 s16, s16, 8
	s_addc_u32 s17, s17, 0
	s_add_u32 s18, s18, 1
	s_addc_u32 s19, s19, 0
	v_or_b32_e32 v4, v6, v4
	s_cmp_lg_u32 s0, s16
	v_or_b32_e32 v5, v7, v5
	s_cbranch_scc1 .LBB6_251
	s_branch .LBB6_254
.LBB6_252:                              ;   in Loop: Header=BB6_248 Depth=1
	s_mov_b32 s20, 0
	s_branch .LBB6_255
.LBB6_253:                              ;   in Loop: Header=BB6_248 Depth=1
	v_mov_b32_e32 v4, 0
	v_mov_b32_e32 v5, 0
.LBB6_254:                              ;   in Loop: Header=BB6_248 Depth=1
	s_mov_b64 s[0:1], s[2:3]
	s_mov_b32 s20, 0
	s_cbranch_execnz .LBB6_256
.LBB6_255:                              ;   in Loop: Header=BB6_248 Depth=1
	global_load_dwordx2 v[4:5], v28, s[2:3]
	s_add_i32 s20, s14, -8
.LBB6_256:                              ;   in Loop: Header=BB6_248 Depth=1
	s_add_u32 s16, s0, 8
	s_addc_u32 s17, s1, 0
	s_cmp_gt_u32 s20, 7
	s_cbranch_scc1 .LBB6_260
; %bb.257:                              ;   in Loop: Header=BB6_248 Depth=1
	s_cmp_eq_u32 s20, 0
	s_cbranch_scc1 .LBB6_261
; %bb.258:                              ;   in Loop: Header=BB6_248 Depth=1
	v_mov_b32_e32 v10, 0
	s_mov_b64 s[16:17], 0
	v_mov_b32_e32 v11, 0
	s_mov_b64 s[18:19], 0
.LBB6_259:                              ;   Parent Loop BB6_248 Depth=1
                                        ; =>  This Inner Loop Header: Depth=2
	s_add_u32 s22, s0, s18
	s_addc_u32 s23, s1, s19
	global_load_ubyte v6, v28, s[22:23]
	s_add_u32 s18, s18, 1
	s_addc_u32 s19, s19, 0
	s_waitcnt vmcnt(0)
	v_and_b32_e32 v27, 0xffff, v6
	v_lshlrev_b64 v[6:7], s16, v[27:28]
	s_add_u32 s16, s16, 8
	s_addc_u32 s17, s17, 0
	v_or_b32_e32 v10, v6, v10
	s_cmp_lg_u32 s20, s18
	v_or_b32_e32 v11, v7, v11
	s_cbranch_scc1 .LBB6_259
	s_branch .LBB6_262
.LBB6_260:                              ;   in Loop: Header=BB6_248 Depth=1
                                        ; implicit-def: $vgpr10_vgpr11
	s_mov_b32 s21, 0
	s_branch .LBB6_263
.LBB6_261:                              ;   in Loop: Header=BB6_248 Depth=1
	v_mov_b32_e32 v10, 0
	v_mov_b32_e32 v11, 0
.LBB6_262:                              ;   in Loop: Header=BB6_248 Depth=1
	s_mov_b64 s[16:17], s[0:1]
	s_mov_b32 s21, 0
	s_cbranch_execnz .LBB6_264
.LBB6_263:                              ;   in Loop: Header=BB6_248 Depth=1
	global_load_dwordx2 v[10:11], v28, s[0:1]
	s_add_i32 s21, s20, -8
.LBB6_264:                              ;   in Loop: Header=BB6_248 Depth=1
	s_add_u32 s0, s16, 8
	s_addc_u32 s1, s17, 0
	s_cmp_gt_u32 s21, 7
	s_cbranch_scc1 .LBB6_268
; %bb.265:                              ;   in Loop: Header=BB6_248 Depth=1
	s_cmp_eq_u32 s21, 0
	s_cbranch_scc1 .LBB6_269
; %bb.266:                              ;   in Loop: Header=BB6_248 Depth=1
	v_mov_b32_e32 v12, 0
	s_mov_b64 s[0:1], 0
	v_mov_b32_e32 v13, 0
	s_mov_b64 s[18:19], 0
.LBB6_267:                              ;   Parent Loop BB6_248 Depth=1
                                        ; =>  This Inner Loop Header: Depth=2
	s_add_u32 s22, s16, s18
	s_addc_u32 s23, s17, s19
	global_load_ubyte v6, v28, s[22:23]
	s_add_u32 s18, s18, 1
	s_addc_u32 s19, s19, 0
	s_waitcnt vmcnt(0)
	v_and_b32_e32 v27, 0xffff, v6
	v_lshlrev_b64 v[6:7], s0, v[27:28]
	s_add_u32 s0, s0, 8
	s_addc_u32 s1, s1, 0
	v_or_b32_e32 v12, v6, v12
	s_cmp_lg_u32 s21, s18
	v_or_b32_e32 v13, v7, v13
	s_cbranch_scc1 .LBB6_267
	s_branch .LBB6_270
.LBB6_268:                              ;   in Loop: Header=BB6_248 Depth=1
	s_mov_b32 s20, 0
	s_branch .LBB6_271
.LBB6_269:                              ;   in Loop: Header=BB6_248 Depth=1
	v_mov_b32_e32 v12, 0
	v_mov_b32_e32 v13, 0
.LBB6_270:                              ;   in Loop: Header=BB6_248 Depth=1
	s_mov_b64 s[0:1], s[16:17]
	s_mov_b32 s20, 0
	s_cbranch_execnz .LBB6_272
.LBB6_271:                              ;   in Loop: Header=BB6_248 Depth=1
	global_load_dwordx2 v[12:13], v28, s[16:17]
	s_add_i32 s20, s21, -8
.LBB6_272:                              ;   in Loop: Header=BB6_248 Depth=1
	s_add_u32 s16, s0, 8
	s_addc_u32 s17, s1, 0
	s_cmp_gt_u32 s20, 7
	s_cbranch_scc1 .LBB6_276
; %bb.273:                              ;   in Loop: Header=BB6_248 Depth=1
	s_cmp_eq_u32 s20, 0
	s_cbranch_scc1 .LBB6_277
; %bb.274:                              ;   in Loop: Header=BB6_248 Depth=1
	v_mov_b32_e32 v14, 0
	s_mov_b64 s[16:17], 0
	v_mov_b32_e32 v15, 0
	s_mov_b64 s[18:19], 0
.LBB6_275:                              ;   Parent Loop BB6_248 Depth=1
                                        ; =>  This Inner Loop Header: Depth=2
	s_add_u32 s22, s0, s18
	s_addc_u32 s23, s1, s19
	global_load_ubyte v6, v28, s[22:23]
	s_add_u32 s18, s18, 1
	s_addc_u32 s19, s19, 0
	s_waitcnt vmcnt(0)
	v_and_b32_e32 v27, 0xffff, v6
	v_lshlrev_b64 v[6:7], s16, v[27:28]
	s_add_u32 s16, s16, 8
	s_addc_u32 s17, s17, 0
	v_or_b32_e32 v14, v6, v14
	s_cmp_lg_u32 s20, s18
	v_or_b32_e32 v15, v7, v15
	s_cbranch_scc1 .LBB6_275
	s_branch .LBB6_278
.LBB6_276:                              ;   in Loop: Header=BB6_248 Depth=1
                                        ; implicit-def: $vgpr14_vgpr15
	s_mov_b32 s21, 0
	s_branch .LBB6_279
.LBB6_277:                              ;   in Loop: Header=BB6_248 Depth=1
	v_mov_b32_e32 v14, 0
	v_mov_b32_e32 v15, 0
.LBB6_278:                              ;   in Loop: Header=BB6_248 Depth=1
	s_mov_b64 s[16:17], s[0:1]
	s_mov_b32 s21, 0
	s_cbranch_execnz .LBB6_280
.LBB6_279:                              ;   in Loop: Header=BB6_248 Depth=1
	global_load_dwordx2 v[14:15], v28, s[0:1]
	s_add_i32 s21, s20, -8
.LBB6_280:                              ;   in Loop: Header=BB6_248 Depth=1
	s_add_u32 s0, s16, 8
	s_addc_u32 s1, s17, 0
	s_cmp_gt_u32 s21, 7
	s_cbranch_scc1 .LBB6_284
; %bb.281:                              ;   in Loop: Header=BB6_248 Depth=1
	s_cmp_eq_u32 s21, 0
	s_cbranch_scc1 .LBB6_285
; %bb.282:                              ;   in Loop: Header=BB6_248 Depth=1
	v_mov_b32_e32 v16, 0
	s_mov_b64 s[0:1], 0
	v_mov_b32_e32 v17, 0
	s_mov_b64 s[18:19], 0
.LBB6_283:                              ;   Parent Loop BB6_248 Depth=1
                                        ; =>  This Inner Loop Header: Depth=2
	s_add_u32 s22, s16, s18
	s_addc_u32 s23, s17, s19
	global_load_ubyte v6, v28, s[22:23]
	s_add_u32 s18, s18, 1
	s_addc_u32 s19, s19, 0
	s_waitcnt vmcnt(0)
	v_and_b32_e32 v27, 0xffff, v6
	v_lshlrev_b64 v[6:7], s0, v[27:28]
	s_add_u32 s0, s0, 8
	s_addc_u32 s1, s1, 0
	v_or_b32_e32 v16, v6, v16
	s_cmp_lg_u32 s21, s18
	v_or_b32_e32 v17, v7, v17
	s_cbranch_scc1 .LBB6_283
	s_branch .LBB6_286
.LBB6_284:                              ;   in Loop: Header=BB6_248 Depth=1
	s_mov_b32 s20, 0
	s_branch .LBB6_287
.LBB6_285:                              ;   in Loop: Header=BB6_248 Depth=1
	v_mov_b32_e32 v16, 0
	v_mov_b32_e32 v17, 0
.LBB6_286:                              ;   in Loop: Header=BB6_248 Depth=1
	s_mov_b64 s[0:1], s[16:17]
	s_mov_b32 s20, 0
	s_cbranch_execnz .LBB6_288
.LBB6_287:                              ;   in Loop: Header=BB6_248 Depth=1
	global_load_dwordx2 v[16:17], v28, s[16:17]
	s_add_i32 s20, s21, -8
.LBB6_288:                              ;   in Loop: Header=BB6_248 Depth=1
	s_add_u32 s16, s0, 8
	s_addc_u32 s17, s1, 0
	s_cmp_gt_u32 s20, 7
	s_cbranch_scc1 .LBB6_292
; %bb.289:                              ;   in Loop: Header=BB6_248 Depth=1
	s_cmp_eq_u32 s20, 0
	s_cbranch_scc1 .LBB6_293
; %bb.290:                              ;   in Loop: Header=BB6_248 Depth=1
	v_mov_b32_e32 v18, 0
	s_mov_b64 s[16:17], 0
	v_mov_b32_e32 v19, 0
	s_mov_b64 s[18:19], 0
.LBB6_291:                              ;   Parent Loop BB6_248 Depth=1
                                        ; =>  This Inner Loop Header: Depth=2
	s_add_u32 s22, s0, s18
	s_addc_u32 s23, s1, s19
	global_load_ubyte v6, v28, s[22:23]
	s_add_u32 s18, s18, 1
	s_addc_u32 s19, s19, 0
	s_waitcnt vmcnt(0)
	v_and_b32_e32 v27, 0xffff, v6
	v_lshlrev_b64 v[6:7], s16, v[27:28]
	s_add_u32 s16, s16, 8
	s_addc_u32 s17, s17, 0
	v_or_b32_e32 v18, v6, v18
	s_cmp_lg_u32 s20, s18
	v_or_b32_e32 v19, v7, v19
	s_cbranch_scc1 .LBB6_291
	s_branch .LBB6_294
.LBB6_292:                              ;   in Loop: Header=BB6_248 Depth=1
                                        ; implicit-def: $vgpr18_vgpr19
	s_mov_b32 s21, 0
	s_branch .LBB6_295
.LBB6_293:                              ;   in Loop: Header=BB6_248 Depth=1
	v_mov_b32_e32 v18, 0
	v_mov_b32_e32 v19, 0
.LBB6_294:                              ;   in Loop: Header=BB6_248 Depth=1
	s_mov_b64 s[16:17], s[0:1]
	s_mov_b32 s21, 0
	s_cbranch_execnz .LBB6_296
.LBB6_295:                              ;   in Loop: Header=BB6_248 Depth=1
	global_load_dwordx2 v[18:19], v28, s[0:1]
	s_add_i32 s21, s20, -8
.LBB6_296:                              ;   in Loop: Header=BB6_248 Depth=1
	s_cmp_gt_u32 s21, 7
	s_cbranch_scc1 .LBB6_300
; %bb.297:                              ;   in Loop: Header=BB6_248 Depth=1
	s_cmp_eq_u32 s21, 0
	s_cbranch_scc1 .LBB6_301
; %bb.298:                              ;   in Loop: Header=BB6_248 Depth=1
	v_mov_b32_e32 v20, 0
	s_mov_b64 s[0:1], 0
	v_mov_b32_e32 v21, 0
	s_mov_b64 s[18:19], s[16:17]
.LBB6_299:                              ;   Parent Loop BB6_248 Depth=1
                                        ; =>  This Inner Loop Header: Depth=2
	global_load_ubyte v6, v28, s[18:19]
	s_add_i32 s21, s21, -1
	s_waitcnt vmcnt(0)
	v_and_b32_e32 v27, 0xffff, v6
	v_lshlrev_b64 v[6:7], s0, v[27:28]
	s_add_u32 s0, s0, 8
	s_addc_u32 s1, s1, 0
	s_add_u32 s18, s18, 1
	s_addc_u32 s19, s19, 0
	v_or_b32_e32 v20, v6, v20
	s_cmp_lg_u32 s21, 0
	v_or_b32_e32 v21, v7, v21
	s_cbranch_scc1 .LBB6_299
	s_branch .LBB6_302
.LBB6_300:                              ;   in Loop: Header=BB6_248 Depth=1
	s_branch .LBB6_303
.LBB6_301:                              ;   in Loop: Header=BB6_248 Depth=1
	v_mov_b32_e32 v20, 0
	v_mov_b32_e32 v21, 0
.LBB6_302:                              ;   in Loop: Header=BB6_248 Depth=1
	s_cbranch_execnz .LBB6_304
.LBB6_303:                              ;   in Loop: Header=BB6_248 Depth=1
	global_load_dwordx2 v[20:21], v28, s[16:17]
.LBB6_304:                              ;   in Loop: Header=BB6_248 Depth=1
	v_readfirstlane_b32 s0, v33
	v_mov_b32_e32 v6, 0
	v_mov_b32_e32 v7, 0
	v_cmp_eq_u32_e64 s[0:1], s0, v33
	s_and_saveexec_b64 s[16:17], s[0:1]
	s_cbranch_execz .LBB6_310
; %bb.305:                              ;   in Loop: Header=BB6_248 Depth=1
	global_load_dwordx2 v[24:25], v28, s[10:11] offset:24 glc
	s_waitcnt vmcnt(0)
	buffer_wbinvl1_vol
	global_load_dwordx2 v[6:7], v28, s[10:11] offset:40
	global_load_dwordx2 v[22:23], v28, s[10:11]
	s_waitcnt vmcnt(1)
	v_and_b32_e32 v6, v6, v24
	v_and_b32_e32 v7, v7, v25
	v_mul_lo_u32 v7, v7, 24
	v_mul_hi_u32 v27, v6, 24
	v_mul_lo_u32 v6, v6, 24
	v_add_u32_e32 v7, v27, v7
	s_waitcnt vmcnt(0)
	v_add_co_u32_e32 v6, vcc, v22, v6
	v_addc_co_u32_e32 v7, vcc, v23, v7, vcc
	global_load_dwordx2 v[22:23], v[6:7], off glc
	s_waitcnt vmcnt(0)
	global_atomic_cmpswap_x2 v[6:7], v28, v[22:25], s[10:11] offset:24 glc
	s_waitcnt vmcnt(0)
	buffer_wbinvl1_vol
	v_cmp_ne_u64_e32 vcc, v[6:7], v[24:25]
	s_and_saveexec_b64 s[18:19], vcc
	s_cbranch_execz .LBB6_309
; %bb.306:                              ;   in Loop: Header=BB6_248 Depth=1
	s_mov_b64 s[20:21], 0
.LBB6_307:                              ;   Parent Loop BB6_248 Depth=1
                                        ; =>  This Inner Loop Header: Depth=2
	s_sleep 1
	global_load_dwordx2 v[22:23], v28, s[10:11] offset:40
	global_load_dwordx2 v[29:30], v28, s[10:11]
	v_mov_b32_e32 v25, v7
	v_mov_b32_e32 v24, v6
	s_waitcnt vmcnt(1)
	v_and_b32_e32 v6, v22, v24
	s_waitcnt vmcnt(0)
	v_mad_u64_u32 v[6:7], s[22:23], v6, 24, v[29:30]
	v_and_b32_e32 v22, v23, v25
	v_mad_u64_u32 v[22:23], s[22:23], v22, 24, v[7:8]
	v_mov_b32_e32 v7, v22
	global_load_dwordx2 v[22:23], v[6:7], off glc
	s_waitcnt vmcnt(0)
	global_atomic_cmpswap_x2 v[6:7], v28, v[22:25], s[10:11] offset:24 glc
	s_waitcnt vmcnt(0)
	buffer_wbinvl1_vol
	v_cmp_eq_u64_e32 vcc, v[6:7], v[24:25]
	s_or_b64 s[20:21], vcc, s[20:21]
	s_andn2_b64 exec, exec, s[20:21]
	s_cbranch_execnz .LBB6_307
; %bb.308:                              ;   in Loop: Header=BB6_248 Depth=1
	s_or_b64 exec, exec, s[20:21]
.LBB6_309:                              ;   in Loop: Header=BB6_248 Depth=1
	s_or_b64 exec, exec, s[18:19]
.LBB6_310:                              ;   in Loop: Header=BB6_248 Depth=1
	s_or_b64 exec, exec, s[16:17]
	global_load_dwordx2 v[29:30], v28, s[10:11] offset:40
	global_load_dwordx4 v[22:25], v28, s[10:11]
	v_readfirstlane_b32 s17, v7
	v_readfirstlane_b32 s16, v6
	s_mov_b64 s[18:19], exec
	s_waitcnt vmcnt(1)
	v_readfirstlane_b32 s20, v29
	v_readfirstlane_b32 s21, v30
	s_and_b64 s[20:21], s[20:21], s[16:17]
	s_mul_i32 s22, s21, 24
	s_mul_hi_u32 s23, s20, 24
	s_mul_i32 s24, s20, 24
	s_add_i32 s22, s23, s22
	v_mov_b32_e32 v6, s22
	s_waitcnt vmcnt(0)
	v_add_co_u32_e32 v29, vcc, s24, v22
	v_addc_co_u32_e32 v30, vcc, v23, v6, vcc
	s_and_saveexec_b64 s[22:23], s[0:1]
	s_cbranch_execz .LBB6_312
; %bb.311:                              ;   in Loop: Header=BB6_248 Depth=1
	v_mov_b32_e32 v6, s18
	v_mov_b32_e32 v7, s19
	global_store_dwordx4 v[29:30], v[6:9], off offset:8
.LBB6_312:                              ;   in Loop: Header=BB6_248 Depth=1
	s_or_b64 exec, exec, s[22:23]
	s_lshl_b64 s[18:19], s[20:21], 12
	v_mov_b32_e32 v6, s19
	v_add_co_u32_e32 v24, vcc, s18, v24
	v_addc_co_u32_e32 v25, vcc, v25, v6, vcc
	v_cmp_lt_u64_e64 vcc, s[12:13], 57
	s_lshl_b32 s18, s14, 2
	v_cndmask_b32_e32 v6, 0, v34, vcc
	s_add_i32 s18, s18, 28
	v_and_b32_e32 v2, 0xffffff1f, v2
	s_and_b32 s18, s18, 0x1e0
	v_or_b32_e32 v2, v2, v6
	v_or_b32_e32 v2, s18, v2
	v_readfirstlane_b32 s18, v24
	v_readfirstlane_b32 s19, v25
	s_nop 4
	global_store_dwordx4 v32, v[2:5], s[18:19]
	global_store_dwordx4 v32, v[10:13], s[18:19] offset:16
	global_store_dwordx4 v32, v[14:17], s[18:19] offset:32
	;; [unrolled: 1-line block ×3, first 2 shown]
	s_and_saveexec_b64 s[18:19], s[0:1]
	s_cbranch_execz .LBB6_320
; %bb.313:                              ;   in Loop: Header=BB6_248 Depth=1
	global_load_dwordx2 v[12:13], v28, s[10:11] offset:32 glc
	global_load_dwordx2 v[2:3], v28, s[10:11] offset:40
	v_mov_b32_e32 v10, s16
	v_mov_b32_e32 v11, s17
	s_waitcnt vmcnt(0)
	v_readfirstlane_b32 s20, v2
	v_readfirstlane_b32 s21, v3
	s_and_b64 s[20:21], s[20:21], s[16:17]
	s_mul_i32 s21, s21, 24
	s_mul_hi_u32 s22, s20, 24
	s_mul_i32 s20, s20, 24
	s_add_i32 s21, s22, s21
	v_mov_b32_e32 v2, s21
	v_add_co_u32_e32 v6, vcc, s20, v22
	v_addc_co_u32_e32 v7, vcc, v23, v2, vcc
	global_store_dwordx2 v[6:7], v[12:13], off
	s_waitcnt vmcnt(0)
	global_atomic_cmpswap_x2 v[4:5], v28, v[10:13], s[10:11] offset:32 glc
	s_waitcnt vmcnt(0)
	v_cmp_ne_u64_e32 vcc, v[4:5], v[12:13]
	s_and_saveexec_b64 s[20:21], vcc
	s_cbranch_execz .LBB6_316
; %bb.314:                              ;   in Loop: Header=BB6_248 Depth=1
	s_mov_b64 s[22:23], 0
.LBB6_315:                              ;   Parent Loop BB6_248 Depth=1
                                        ; =>  This Inner Loop Header: Depth=2
	s_sleep 1
	global_store_dwordx2 v[6:7], v[4:5], off
	v_mov_b32_e32 v2, s16
	v_mov_b32_e32 v3, s17
	s_waitcnt vmcnt(0)
	global_atomic_cmpswap_x2 v[2:3], v28, v[2:5], s[10:11] offset:32 glc
	s_waitcnt vmcnt(0)
	v_cmp_eq_u64_e32 vcc, v[2:3], v[4:5]
	v_mov_b32_e32 v5, v3
	s_or_b64 s[22:23], vcc, s[22:23]
	v_mov_b32_e32 v4, v2
	s_andn2_b64 exec, exec, s[22:23]
	s_cbranch_execnz .LBB6_315
.LBB6_316:                              ;   in Loop: Header=BB6_248 Depth=1
	s_or_b64 exec, exec, s[20:21]
	global_load_dwordx2 v[2:3], v28, s[10:11] offset:16
	s_mov_b64 s[22:23], exec
	v_mbcnt_lo_u32_b32 v4, s22, 0
	v_mbcnt_hi_u32_b32 v4, s23, v4
	v_cmp_eq_u32_e32 vcc, 0, v4
	s_and_saveexec_b64 s[20:21], vcc
	s_cbranch_execz .LBB6_318
; %bb.317:                              ;   in Loop: Header=BB6_248 Depth=1
	s_bcnt1_i32_b64 s22, s[22:23]
	v_mov_b32_e32 v27, s22
	s_waitcnt vmcnt(0)
	global_atomic_add_x2 v[2:3], v[27:28], off offset:8
.LBB6_318:                              ;   in Loop: Header=BB6_248 Depth=1
	s_or_b64 exec, exec, s[20:21]
	s_waitcnt vmcnt(0)
	global_load_dwordx2 v[4:5], v[2:3], off offset:16
	s_waitcnt vmcnt(0)
	v_cmp_eq_u64_e32 vcc, 0, v[4:5]
	s_cbranch_vccnz .LBB6_320
; %bb.319:                              ;   in Loop: Header=BB6_248 Depth=1
	global_load_dword v27, v[2:3], off offset:24
	s_waitcnt vmcnt(0)
	v_readfirstlane_b32 s20, v27
	s_and_b32 m0, s20, 0xffffff
	global_store_dwordx2 v[4:5], v[27:28], off
	s_sendmsg sendmsg(MSG_INTERRUPT)
.LBB6_320:                              ;   in Loop: Header=BB6_248 Depth=1
	s_or_b64 exec, exec, s[18:19]
	v_add_co_u32_e32 v2, vcc, v24, v32
	v_addc_co_u32_e32 v3, vcc, 0, v25, vcc
	s_branch .LBB6_324
.LBB6_321:                              ;   in Loop: Header=BB6_324 Depth=2
	s_or_b64 exec, exec, s[18:19]
	v_readfirstlane_b32 s18, v4
	s_cmp_eq_u32 s18, 0
	s_cbranch_scc1 .LBB6_323
; %bb.322:                              ;   in Loop: Header=BB6_324 Depth=2
	s_sleep 1
	s_cbranch_execnz .LBB6_324
	s_branch .LBB6_326
.LBB6_323:                              ;   in Loop: Header=BB6_248 Depth=1
	s_branch .LBB6_326
.LBB6_324:                              ;   Parent Loop BB6_248 Depth=1
                                        ; =>  This Inner Loop Header: Depth=2
	v_mov_b32_e32 v4, 1
	s_and_saveexec_b64 s[18:19], s[0:1]
	s_cbranch_execz .LBB6_321
; %bb.325:                              ;   in Loop: Header=BB6_324 Depth=2
	global_load_dword v4, v[29:30], off offset:20 glc
	s_waitcnt vmcnt(0)
	buffer_wbinvl1_vol
	v_and_b32_e32 v4, 1, v4
	s_branch .LBB6_321
.LBB6_326:                              ;   in Loop: Header=BB6_248 Depth=1
	global_load_dwordx2 v[2:3], v[2:3], off
	s_and_saveexec_b64 s[18:19], s[0:1]
	s_cbranch_execz .LBB6_247
; %bb.327:                              ;   in Loop: Header=BB6_248 Depth=1
	global_load_dwordx2 v[4:5], v28, s[10:11] offset:40
	global_load_dwordx2 v[14:15], v28, s[10:11] offset:24 glc
	global_load_dwordx2 v[6:7], v28, s[10:11]
	s_waitcnt vmcnt(2)
	v_readfirstlane_b32 s20, v4
	v_readfirstlane_b32 s21, v5
	s_add_u32 s22, s20, 1
	s_addc_u32 s23, s21, 0
	s_add_u32 s0, s22, s16
	s_addc_u32 s1, s23, s17
	s_cmp_eq_u64 s[0:1], 0
	s_cselect_b32 s1, s23, s1
	s_cselect_b32 s0, s22, s0
	s_and_b64 s[16:17], s[0:1], s[20:21]
	s_mul_i32 s17, s17, 24
	s_mul_hi_u32 s20, s16, 24
	s_mul_i32 s16, s16, 24
	s_add_i32 s17, s20, s17
	v_mov_b32_e32 v4, s17
	s_waitcnt vmcnt(0)
	v_add_co_u32_e32 v10, vcc, s16, v6
	v_addc_co_u32_e32 v11, vcc, v7, v4, vcc
	v_mov_b32_e32 v12, s0
	global_store_dwordx2 v[10:11], v[14:15], off
	v_mov_b32_e32 v13, s1
	s_waitcnt vmcnt(0)
	global_atomic_cmpswap_x2 v[6:7], v28, v[12:15], s[10:11] offset:24 glc
	s_waitcnt vmcnt(0)
	v_cmp_ne_u64_e32 vcc, v[6:7], v[14:15]
	s_and_b64 exec, exec, vcc
	s_cbranch_execz .LBB6_247
; %bb.328:                              ;   in Loop: Header=BB6_248 Depth=1
	s_mov_b64 s[16:17], 0
.LBB6_329:                              ;   Parent Loop BB6_248 Depth=1
                                        ; =>  This Inner Loop Header: Depth=2
	s_sleep 1
	global_store_dwordx2 v[10:11], v[6:7], off
	v_mov_b32_e32 v4, s0
	v_mov_b32_e32 v5, s1
	s_waitcnt vmcnt(0)
	global_atomic_cmpswap_x2 v[4:5], v28, v[4:7], s[10:11] offset:24 glc
	s_waitcnt vmcnt(0)
	v_cmp_eq_u64_e32 vcc, v[4:5], v[6:7]
	v_mov_b32_e32 v7, v5
	s_or_b64 s[16:17], vcc, s[16:17]
	v_mov_b32_e32 v6, v4
	s_andn2_b64 exec, exec, s[16:17]
	s_cbranch_execnz .LBB6_329
	s_branch .LBB6_247
.LBB6_330:
	s_branch .LBB6_358
.LBB6_331:
                                        ; implicit-def: $vgpr2_vgpr3
	s_cbranch_execz .LBB6_358
; %bb.332:
	v_readfirstlane_b32 s0, v33
	v_mov_b32_e32 v8, 0
	v_mov_b32_e32 v9, 0
	v_cmp_eq_u32_e64 s[0:1], s0, v33
	s_and_saveexec_b64 s[2:3], s[0:1]
	s_cbranch_execz .LBB6_338
; %bb.333:
	s_waitcnt vmcnt(0)
	v_mov_b32_e32 v2, 0
	global_load_dwordx2 v[5:6], v2, s[10:11] offset:24 glc
	s_waitcnt vmcnt(0)
	buffer_wbinvl1_vol
	global_load_dwordx2 v[3:4], v2, s[10:11] offset:40
	global_load_dwordx2 v[7:8], v2, s[10:11]
	s_waitcnt vmcnt(1)
	v_and_b32_e32 v3, v3, v5
	v_and_b32_e32 v4, v4, v6
	v_mul_lo_u32 v4, v4, 24
	v_mul_hi_u32 v9, v3, 24
	v_mul_lo_u32 v3, v3, 24
	v_add_u32_e32 v4, v9, v4
	s_waitcnt vmcnt(0)
	v_add_co_u32_e32 v3, vcc, v7, v3
	v_addc_co_u32_e32 v4, vcc, v8, v4, vcc
	global_load_dwordx2 v[3:4], v[3:4], off glc
	s_waitcnt vmcnt(0)
	global_atomic_cmpswap_x2 v[8:9], v2, v[3:6], s[10:11] offset:24 glc
	s_waitcnt vmcnt(0)
	buffer_wbinvl1_vol
	v_cmp_ne_u64_e32 vcc, v[8:9], v[5:6]
	s_and_saveexec_b64 s[12:13], vcc
	s_cbranch_execz .LBB6_337
; %bb.334:
	s_mov_b64 s[14:15], 0
.LBB6_335:                              ; =>This Inner Loop Header: Depth=1
	s_sleep 1
	global_load_dwordx2 v[3:4], v2, s[10:11] offset:40
	global_load_dwordx2 v[10:11], v2, s[10:11]
	v_mov_b32_e32 v5, v8
	v_mov_b32_e32 v6, v9
	s_waitcnt vmcnt(1)
	v_and_b32_e32 v3, v3, v5
	s_waitcnt vmcnt(0)
	v_mad_u64_u32 v[7:8], s[16:17], v3, 24, v[10:11]
	v_and_b32_e32 v4, v4, v6
	v_mov_b32_e32 v3, v8
	v_mad_u64_u32 v[3:4], s[16:17], v4, 24, v[3:4]
	v_mov_b32_e32 v8, v3
	global_load_dwordx2 v[3:4], v[7:8], off glc
	s_waitcnt vmcnt(0)
	global_atomic_cmpswap_x2 v[8:9], v2, v[3:6], s[10:11] offset:24 glc
	s_waitcnt vmcnt(0)
	buffer_wbinvl1_vol
	v_cmp_eq_u64_e32 vcc, v[8:9], v[5:6]
	s_or_b64 s[14:15], vcc, s[14:15]
	s_andn2_b64 exec, exec, s[14:15]
	s_cbranch_execnz .LBB6_335
; %bb.336:
	s_or_b64 exec, exec, s[14:15]
.LBB6_337:
	s_or_b64 exec, exec, s[12:13]
.LBB6_338:
	s_or_b64 exec, exec, s[2:3]
	s_waitcnt vmcnt(0)
	v_mov_b32_e32 v2, 0
	global_load_dwordx2 v[10:11], v2, s[10:11] offset:40
	global_load_dwordx4 v[4:7], v2, s[10:11]
	v_readfirstlane_b32 s3, v9
	v_readfirstlane_b32 s2, v8
	s_mov_b64 s[12:13], exec
	s_waitcnt vmcnt(1)
	v_readfirstlane_b32 s14, v10
	v_readfirstlane_b32 s15, v11
	s_and_b64 s[14:15], s[14:15], s[2:3]
	s_mul_i32 s16, s15, 24
	s_mul_hi_u32 s17, s14, 24
	s_mul_i32 s18, s14, 24
	s_add_i32 s16, s17, s16
	v_mov_b32_e32 v3, s16
	s_waitcnt vmcnt(0)
	v_add_co_u32_e32 v8, vcc, s18, v4
	v_addc_co_u32_e32 v9, vcc, v5, v3, vcc
	s_and_saveexec_b64 s[16:17], s[0:1]
	s_cbranch_execz .LBB6_340
; %bb.339:
	v_mov_b32_e32 v10, s12
	v_mov_b32_e32 v11, s13
	v_mov_b32_e32 v12, 2
	v_mov_b32_e32 v13, 1
	global_store_dwordx4 v[8:9], v[10:13], off offset:8
.LBB6_340:
	s_or_b64 exec, exec, s[16:17]
	s_lshl_b64 s[12:13], s[14:15], 12
	v_mov_b32_e32 v3, s13
	v_add_co_u32_e32 v10, vcc, s12, v6
	v_addc_co_u32_e32 v11, vcc, v7, v3, vcc
	s_movk_i32 s12, 0xff1f
	v_and_or_b32 v0, v0, s12, 32
	s_mov_b32 s12, 0
	v_mov_b32_e32 v3, v2
	v_readfirstlane_b32 s16, v10
	v_readfirstlane_b32 s17, v11
	v_add_co_u32_e32 v6, vcc, v10, v32
	s_mov_b32 s13, s12
	s_mov_b32 s14, s12
	;; [unrolled: 1-line block ×3, first 2 shown]
	s_nop 0
	global_store_dwordx4 v32, v[0:3], s[16:17]
	v_addc_co_u32_e32 v7, vcc, 0, v11, vcc
	v_mov_b32_e32 v0, s12
	v_mov_b32_e32 v1, s13
	v_mov_b32_e32 v2, s14
	v_mov_b32_e32 v3, s15
	global_store_dwordx4 v32, v[0:3], s[16:17] offset:16
	global_store_dwordx4 v32, v[0:3], s[16:17] offset:32
	;; [unrolled: 1-line block ×3, first 2 shown]
	s_and_saveexec_b64 s[12:13], s[0:1]
	s_cbranch_execz .LBB6_348
; %bb.341:
	v_mov_b32_e32 v10, 0
	global_load_dwordx2 v[13:14], v10, s[10:11] offset:32 glc
	global_load_dwordx2 v[0:1], v10, s[10:11] offset:40
	v_mov_b32_e32 v11, s2
	v_mov_b32_e32 v12, s3
	s_waitcnt vmcnt(0)
	v_readfirstlane_b32 s14, v0
	v_readfirstlane_b32 s15, v1
	s_and_b64 s[14:15], s[14:15], s[2:3]
	s_mul_i32 s15, s15, 24
	s_mul_hi_u32 s16, s14, 24
	s_mul_i32 s14, s14, 24
	s_add_i32 s15, s16, s15
	v_mov_b32_e32 v0, s15
	v_add_co_u32_e32 v4, vcc, s14, v4
	v_addc_co_u32_e32 v5, vcc, v5, v0, vcc
	global_store_dwordx2 v[4:5], v[13:14], off
	s_waitcnt vmcnt(0)
	global_atomic_cmpswap_x2 v[2:3], v10, v[11:14], s[10:11] offset:32 glc
	s_waitcnt vmcnt(0)
	v_cmp_ne_u64_e32 vcc, v[2:3], v[13:14]
	s_and_saveexec_b64 s[14:15], vcc
	s_cbranch_execz .LBB6_344
; %bb.342:
	s_mov_b64 s[16:17], 0
.LBB6_343:                              ; =>This Inner Loop Header: Depth=1
	s_sleep 1
	global_store_dwordx2 v[4:5], v[2:3], off
	v_mov_b32_e32 v0, s2
	v_mov_b32_e32 v1, s3
	s_waitcnt vmcnt(0)
	global_atomic_cmpswap_x2 v[0:1], v10, v[0:3], s[10:11] offset:32 glc
	s_waitcnt vmcnt(0)
	v_cmp_eq_u64_e32 vcc, v[0:1], v[2:3]
	v_mov_b32_e32 v3, v1
	s_or_b64 s[16:17], vcc, s[16:17]
	v_mov_b32_e32 v2, v0
	s_andn2_b64 exec, exec, s[16:17]
	s_cbranch_execnz .LBB6_343
.LBB6_344:
	s_or_b64 exec, exec, s[14:15]
	v_mov_b32_e32 v3, 0
	global_load_dwordx2 v[0:1], v3, s[10:11] offset:16
	s_mov_b64 s[14:15], exec
	v_mbcnt_lo_u32_b32 v2, s14, 0
	v_mbcnt_hi_u32_b32 v2, s15, v2
	v_cmp_eq_u32_e32 vcc, 0, v2
	s_and_saveexec_b64 s[16:17], vcc
	s_cbranch_execz .LBB6_346
; %bb.345:
	s_bcnt1_i32_b64 s14, s[14:15]
	v_mov_b32_e32 v2, s14
	s_waitcnt vmcnt(0)
	global_atomic_add_x2 v[0:1], v[2:3], off offset:8
.LBB6_346:
	s_or_b64 exec, exec, s[16:17]
	s_waitcnt vmcnt(0)
	global_load_dwordx2 v[2:3], v[0:1], off offset:16
	s_waitcnt vmcnt(0)
	v_cmp_eq_u64_e32 vcc, 0, v[2:3]
	s_cbranch_vccnz .LBB6_348
; %bb.347:
	global_load_dword v0, v[0:1], off offset:24
	v_mov_b32_e32 v1, 0
	s_waitcnt vmcnt(0)
	v_readfirstlane_b32 s14, v0
	s_and_b32 m0, s14, 0xffffff
	global_store_dwordx2 v[2:3], v[0:1], off
	s_sendmsg sendmsg(MSG_INTERRUPT)
.LBB6_348:
	s_or_b64 exec, exec, s[12:13]
	s_branch .LBB6_352
.LBB6_349:                              ;   in Loop: Header=BB6_352 Depth=1
	s_or_b64 exec, exec, s[12:13]
	v_readfirstlane_b32 s12, v0
	s_cmp_eq_u32 s12, 0
	s_cbranch_scc1 .LBB6_351
; %bb.350:                              ;   in Loop: Header=BB6_352 Depth=1
	s_sleep 1
	s_cbranch_execnz .LBB6_352
	s_branch .LBB6_354
.LBB6_351:
	s_branch .LBB6_354
.LBB6_352:                              ; =>This Inner Loop Header: Depth=1
	v_mov_b32_e32 v0, 1
	s_and_saveexec_b64 s[12:13], s[0:1]
	s_cbranch_execz .LBB6_349
; %bb.353:                              ;   in Loop: Header=BB6_352 Depth=1
	global_load_dword v0, v[8:9], off offset:20 glc
	s_waitcnt vmcnt(0)
	buffer_wbinvl1_vol
	v_and_b32_e32 v0, 1, v0
	s_branch .LBB6_349
.LBB6_354:
	global_load_dwordx2 v[2:3], v[6:7], off
	s_and_saveexec_b64 s[12:13], s[0:1]
	s_cbranch_execz .LBB6_357
; %bb.355:
	v_mov_b32_e32 v8, 0
	global_load_dwordx2 v[0:1], v8, s[10:11] offset:40
	global_load_dwordx2 v[11:12], v8, s[10:11] offset:24 glc
	global_load_dwordx2 v[4:5], v8, s[10:11]
	s_waitcnt vmcnt(2)
	v_readfirstlane_b32 s14, v0
	v_readfirstlane_b32 s15, v1
	s_add_u32 s16, s14, 1
	s_addc_u32 s17, s15, 0
	s_add_u32 s0, s16, s2
	s_addc_u32 s1, s17, s3
	s_cmp_eq_u64 s[0:1], 0
	s_cselect_b32 s1, s17, s1
	s_cselect_b32 s0, s16, s0
	s_and_b64 s[2:3], s[0:1], s[14:15]
	s_mul_i32 s3, s3, 24
	s_mul_hi_u32 s14, s2, 24
	s_mul_i32 s2, s2, 24
	s_add_i32 s3, s14, s3
	v_mov_b32_e32 v1, s3
	s_waitcnt vmcnt(0)
	v_add_co_u32_e32 v0, vcc, s2, v4
	v_addc_co_u32_e32 v1, vcc, v5, v1, vcc
	v_mov_b32_e32 v9, s0
	global_store_dwordx2 v[0:1], v[11:12], off
	v_mov_b32_e32 v10, s1
	s_waitcnt vmcnt(0)
	global_atomic_cmpswap_x2 v[6:7], v8, v[9:12], s[10:11] offset:24 glc
	s_mov_b64 s[2:3], 0
	s_waitcnt vmcnt(0)
	v_cmp_ne_u64_e32 vcc, v[6:7], v[11:12]
	s_and_b64 exec, exec, vcc
	s_cbranch_execz .LBB6_357
.LBB6_356:                              ; =>This Inner Loop Header: Depth=1
	s_sleep 1
	global_store_dwordx2 v[0:1], v[6:7], off
	v_mov_b32_e32 v4, s0
	v_mov_b32_e32 v5, s1
	s_waitcnt vmcnt(0)
	global_atomic_cmpswap_x2 v[4:5], v8, v[4:7], s[10:11] offset:24 glc
	s_waitcnt vmcnt(0)
	v_cmp_eq_u64_e32 vcc, v[4:5], v[6:7]
	v_mov_b32_e32 v7, v5
	s_or_b64 s[2:3], vcc, s[2:3]
	v_mov_b32_e32 v6, v4
	s_andn2_b64 exec, exec, s[2:3]
	s_cbranch_execnz .LBB6_356
.LBB6_357:
	s_or_b64 exec, exec, s[12:13]
.LBB6_358:
	v_readfirstlane_b32 s0, v33
	s_waitcnt vmcnt(0)
	v_mov_b32_e32 v0, 0
	v_mov_b32_e32 v1, 0
	v_cmp_eq_u32_e64 s[0:1], s0, v33
	s_and_saveexec_b64 s[2:3], s[0:1]
	s_cbranch_execz .LBB6_364
; %bb.359:
	v_mov_b32_e32 v4, 0
	global_load_dwordx2 v[7:8], v4, s[10:11] offset:24 glc
	s_waitcnt vmcnt(0)
	buffer_wbinvl1_vol
	global_load_dwordx2 v[0:1], v4, s[10:11] offset:40
	global_load_dwordx2 v[5:6], v4, s[10:11]
	s_waitcnt vmcnt(1)
	v_and_b32_e32 v0, v0, v7
	v_and_b32_e32 v1, v1, v8
	v_mul_lo_u32 v1, v1, 24
	v_mul_hi_u32 v9, v0, 24
	v_mul_lo_u32 v0, v0, 24
	v_add_u32_e32 v1, v9, v1
	s_waitcnt vmcnt(0)
	v_add_co_u32_e32 v0, vcc, v5, v0
	v_addc_co_u32_e32 v1, vcc, v6, v1, vcc
	global_load_dwordx2 v[5:6], v[0:1], off glc
	s_waitcnt vmcnt(0)
	global_atomic_cmpswap_x2 v[0:1], v4, v[5:8], s[10:11] offset:24 glc
	s_waitcnt vmcnt(0)
	buffer_wbinvl1_vol
	v_cmp_ne_u64_e32 vcc, v[0:1], v[7:8]
	s_and_saveexec_b64 s[12:13], vcc
	s_cbranch_execz .LBB6_363
; %bb.360:
	s_mov_b64 s[14:15], 0
.LBB6_361:                              ; =>This Inner Loop Header: Depth=1
	s_sleep 1
	global_load_dwordx2 v[5:6], v4, s[10:11] offset:40
	global_load_dwordx2 v[9:10], v4, s[10:11]
	v_mov_b32_e32 v8, v1
	v_mov_b32_e32 v7, v0
	s_waitcnt vmcnt(1)
	v_and_b32_e32 v0, v5, v7
	s_waitcnt vmcnt(0)
	v_mad_u64_u32 v[0:1], s[16:17], v0, 24, v[9:10]
	v_and_b32_e32 v5, v6, v8
	v_mad_u64_u32 v[5:6], s[16:17], v5, 24, v[1:2]
	v_mov_b32_e32 v1, v5
	global_load_dwordx2 v[5:6], v[0:1], off glc
	s_waitcnt vmcnt(0)
	global_atomic_cmpswap_x2 v[0:1], v4, v[5:8], s[10:11] offset:24 glc
	s_waitcnt vmcnt(0)
	buffer_wbinvl1_vol
	v_cmp_eq_u64_e32 vcc, v[0:1], v[7:8]
	s_or_b64 s[14:15], vcc, s[14:15]
	s_andn2_b64 exec, exec, s[14:15]
	s_cbranch_execnz .LBB6_361
; %bb.362:
	s_or_b64 exec, exec, s[14:15]
.LBB6_363:
	s_or_b64 exec, exec, s[12:13]
.LBB6_364:
	s_or_b64 exec, exec, s[2:3]
	v_mov_b32_e32 v5, 0
	global_load_dwordx2 v[10:11], v5, s[10:11] offset:40
	global_load_dwordx4 v[6:9], v5, s[10:11]
	v_readfirstlane_b32 s3, v1
	v_readfirstlane_b32 s2, v0
	s_mov_b64 s[12:13], exec
	s_waitcnt vmcnt(1)
	v_readfirstlane_b32 s14, v10
	v_readfirstlane_b32 s15, v11
	s_and_b64 s[14:15], s[14:15], s[2:3]
	s_mul_i32 s16, s15, 24
	s_mul_hi_u32 s17, s14, 24
	s_mul_i32 s18, s14, 24
	s_add_i32 s16, s17, s16
	v_mov_b32_e32 v0, s16
	s_waitcnt vmcnt(0)
	v_add_co_u32_e32 v10, vcc, s18, v6
	v_addc_co_u32_e32 v11, vcc, v7, v0, vcc
	s_and_saveexec_b64 s[16:17], s[0:1]
	s_cbranch_execz .LBB6_366
; %bb.365:
	v_mov_b32_e32 v12, s12
	v_mov_b32_e32 v13, s13
	;; [unrolled: 1-line block ×4, first 2 shown]
	global_store_dwordx4 v[10:11], v[12:15], off offset:8
.LBB6_366:
	s_or_b64 exec, exec, s[16:17]
	s_lshl_b64 s[12:13], s[14:15], 12
	v_mov_b32_e32 v0, s13
	v_add_co_u32_e32 v1, vcc, s12, v8
	v_addc_co_u32_e32 v0, vcc, v9, v0, vcc
	s_lshr_b32 s13, s26, 5
	s_movk_i32 s14, 0xff1f
	s_mov_b32 s12, 0
	v_and_or_b32 v2, v2, s14, 32
	v_add_co_u32_e32 v8, vcc, v1, v32
	v_mov_b32_e32 v4, s13
	v_readfirstlane_b32 s16, v1
	v_readfirstlane_b32 s17, v0
	v_addc_co_u32_e32 v9, vcc, 0, v0, vcc
	s_mov_b32 s13, s12
	s_mov_b32 s14, s12
	;; [unrolled: 1-line block ×3, first 2 shown]
	s_nop 0
	global_store_dwordx4 v32, v[2:5], s[16:17]
	v_mov_b32_e32 v0, s12
	v_mov_b32_e32 v1, s13
	;; [unrolled: 1-line block ×4, first 2 shown]
	global_store_dwordx4 v32, v[0:3], s[16:17] offset:16
	global_store_dwordx4 v32, v[0:3], s[16:17] offset:32
	;; [unrolled: 1-line block ×3, first 2 shown]
	s_and_saveexec_b64 s[12:13], s[0:1]
	s_cbranch_execz .LBB6_374
; %bb.367:
	v_mov_b32_e32 v12, 0
	global_load_dwordx2 v[15:16], v12, s[10:11] offset:32 glc
	global_load_dwordx2 v[0:1], v12, s[10:11] offset:40
	v_mov_b32_e32 v13, s2
	v_mov_b32_e32 v14, s3
	s_waitcnt vmcnt(0)
	v_readfirstlane_b32 s14, v0
	v_readfirstlane_b32 s15, v1
	s_and_b64 s[14:15], s[14:15], s[2:3]
	s_mul_i32 s15, s15, 24
	s_mul_hi_u32 s16, s14, 24
	s_mul_i32 s14, s14, 24
	s_add_i32 s15, s16, s15
	v_mov_b32_e32 v0, s15
	v_add_co_u32_e32 v4, vcc, s14, v6
	v_addc_co_u32_e32 v5, vcc, v7, v0, vcc
	global_store_dwordx2 v[4:5], v[15:16], off
	s_waitcnt vmcnt(0)
	global_atomic_cmpswap_x2 v[2:3], v12, v[13:16], s[10:11] offset:32 glc
	s_waitcnt vmcnt(0)
	v_cmp_ne_u64_e32 vcc, v[2:3], v[15:16]
	s_and_saveexec_b64 s[14:15], vcc
	s_cbranch_execz .LBB6_370
; %bb.368:
	s_mov_b64 s[16:17], 0
.LBB6_369:                              ; =>This Inner Loop Header: Depth=1
	s_sleep 1
	global_store_dwordx2 v[4:5], v[2:3], off
	v_mov_b32_e32 v0, s2
	v_mov_b32_e32 v1, s3
	s_waitcnt vmcnt(0)
	global_atomic_cmpswap_x2 v[0:1], v12, v[0:3], s[10:11] offset:32 glc
	s_waitcnt vmcnt(0)
	v_cmp_eq_u64_e32 vcc, v[0:1], v[2:3]
	v_mov_b32_e32 v3, v1
	s_or_b64 s[16:17], vcc, s[16:17]
	v_mov_b32_e32 v2, v0
	s_andn2_b64 exec, exec, s[16:17]
	s_cbranch_execnz .LBB6_369
.LBB6_370:
	s_or_b64 exec, exec, s[14:15]
	v_mov_b32_e32 v3, 0
	global_load_dwordx2 v[0:1], v3, s[10:11] offset:16
	s_mov_b64 s[14:15], exec
	v_mbcnt_lo_u32_b32 v2, s14, 0
	v_mbcnt_hi_u32_b32 v2, s15, v2
	v_cmp_eq_u32_e32 vcc, 0, v2
	s_and_saveexec_b64 s[16:17], vcc
	s_cbranch_execz .LBB6_372
; %bb.371:
	s_bcnt1_i32_b64 s14, s[14:15]
	v_mov_b32_e32 v2, s14
	s_waitcnt vmcnt(0)
	global_atomic_add_x2 v[0:1], v[2:3], off offset:8
.LBB6_372:
	s_or_b64 exec, exec, s[16:17]
	s_waitcnt vmcnt(0)
	global_load_dwordx2 v[2:3], v[0:1], off offset:16
	s_waitcnt vmcnt(0)
	v_cmp_eq_u64_e32 vcc, 0, v[2:3]
	s_cbranch_vccnz .LBB6_374
; %bb.373:
	global_load_dword v0, v[0:1], off offset:24
	v_mov_b32_e32 v1, 0
	s_waitcnt vmcnt(0)
	v_readfirstlane_b32 s14, v0
	s_and_b32 m0, s14, 0xffffff
	global_store_dwordx2 v[2:3], v[0:1], off
	s_sendmsg sendmsg(MSG_INTERRUPT)
.LBB6_374:
	s_or_b64 exec, exec, s[12:13]
	s_branch .LBB6_378
.LBB6_375:                              ;   in Loop: Header=BB6_378 Depth=1
	s_or_b64 exec, exec, s[12:13]
	v_readfirstlane_b32 s12, v0
	s_cmp_eq_u32 s12, 0
	s_cbranch_scc1 .LBB6_377
; %bb.376:                              ;   in Loop: Header=BB6_378 Depth=1
	s_sleep 1
	s_cbranch_execnz .LBB6_378
	s_branch .LBB6_380
.LBB6_377:
	s_branch .LBB6_380
.LBB6_378:                              ; =>This Inner Loop Header: Depth=1
	v_mov_b32_e32 v0, 1
	s_and_saveexec_b64 s[12:13], s[0:1]
	s_cbranch_execz .LBB6_375
; %bb.379:                              ;   in Loop: Header=BB6_378 Depth=1
	global_load_dword v0, v[10:11], off offset:20 glc
	s_waitcnt vmcnt(0)
	buffer_wbinvl1_vol
	v_and_b32_e32 v0, 1, v0
	s_branch .LBB6_375
.LBB6_380:
	global_load_dwordx2 v[0:1], v[8:9], off
	s_and_saveexec_b64 s[12:13], s[0:1]
	s_cbranch_execz .LBB6_383
; %bb.381:
	v_mov_b32_e32 v8, 0
	global_load_dwordx2 v[2:3], v8, s[10:11] offset:40
	global_load_dwordx2 v[11:12], v8, s[10:11] offset:24 glc
	global_load_dwordx2 v[4:5], v8, s[10:11]
	s_waitcnt vmcnt(2)
	v_readfirstlane_b32 s14, v2
	v_readfirstlane_b32 s15, v3
	s_add_u32 s16, s14, 1
	s_addc_u32 s17, s15, 0
	s_add_u32 s0, s16, s2
	s_addc_u32 s1, s17, s3
	s_cmp_eq_u64 s[0:1], 0
	s_cselect_b32 s1, s17, s1
	s_cselect_b32 s0, s16, s0
	s_and_b64 s[2:3], s[0:1], s[14:15]
	s_mul_i32 s3, s3, 24
	s_mul_hi_u32 s14, s2, 24
	s_mul_i32 s2, s2, 24
	s_add_i32 s3, s14, s3
	v_mov_b32_e32 v2, s3
	s_waitcnt vmcnt(0)
	v_add_co_u32_e32 v6, vcc, s2, v4
	v_addc_co_u32_e32 v7, vcc, v5, v2, vcc
	v_mov_b32_e32 v9, s0
	global_store_dwordx2 v[6:7], v[11:12], off
	v_mov_b32_e32 v10, s1
	s_waitcnt vmcnt(0)
	global_atomic_cmpswap_x2 v[4:5], v8, v[9:12], s[10:11] offset:24 glc
	s_mov_b64 s[2:3], 0
	s_waitcnt vmcnt(0)
	v_cmp_ne_u64_e32 vcc, v[4:5], v[11:12]
	s_and_b64 exec, exec, vcc
	s_cbranch_execz .LBB6_383
.LBB6_382:                              ; =>This Inner Loop Header: Depth=1
	s_sleep 1
	global_store_dwordx2 v[6:7], v[4:5], off
	v_mov_b32_e32 v2, s0
	v_mov_b32_e32 v3, s1
	s_waitcnt vmcnt(0)
	global_atomic_cmpswap_x2 v[2:3], v8, v[2:5], s[10:11] offset:24 glc
	s_waitcnt vmcnt(0)
	v_cmp_eq_u64_e32 vcc, v[2:3], v[4:5]
	v_mov_b32_e32 v5, v3
	s_or_b64 s[2:3], vcc, s[2:3]
	v_mov_b32_e32 v4, v2
	s_andn2_b64 exec, exec, s[2:3]
	s_cbranch_execnz .LBB6_382
.LBB6_383:
	s_or_b64 exec, exec, s[12:13]
	v_readfirstlane_b32 s0, v33
	v_mov_b32_e32 v8, 0
	v_mov_b32_e32 v9, 0
	v_cmp_eq_u32_e64 s[0:1], s0, v33
	s_and_saveexec_b64 s[2:3], s[0:1]
	s_cbranch_execz .LBB6_389
; %bb.384:
	v_mov_b32_e32 v2, 0
	global_load_dwordx2 v[5:6], v2, s[10:11] offset:24 glc
	s_waitcnt vmcnt(0)
	buffer_wbinvl1_vol
	global_load_dwordx2 v[3:4], v2, s[10:11] offset:40
	global_load_dwordx2 v[7:8], v2, s[10:11]
	s_waitcnt vmcnt(1)
	v_and_b32_e32 v3, v3, v5
	v_and_b32_e32 v4, v4, v6
	v_mul_lo_u32 v4, v4, 24
	v_mul_hi_u32 v9, v3, 24
	v_mul_lo_u32 v3, v3, 24
	v_add_u32_e32 v4, v9, v4
	s_waitcnt vmcnt(0)
	v_add_co_u32_e32 v3, vcc, v7, v3
	v_addc_co_u32_e32 v4, vcc, v8, v4, vcc
	global_load_dwordx2 v[3:4], v[3:4], off glc
	s_waitcnt vmcnt(0)
	global_atomic_cmpswap_x2 v[8:9], v2, v[3:6], s[10:11] offset:24 glc
	s_waitcnt vmcnt(0)
	buffer_wbinvl1_vol
	v_cmp_ne_u64_e32 vcc, v[8:9], v[5:6]
	s_and_saveexec_b64 s[12:13], vcc
	s_cbranch_execz .LBB6_388
; %bb.385:
	s_mov_b64 s[14:15], 0
.LBB6_386:                              ; =>This Inner Loop Header: Depth=1
	s_sleep 1
	global_load_dwordx2 v[3:4], v2, s[10:11] offset:40
	global_load_dwordx2 v[10:11], v2, s[10:11]
	v_mov_b32_e32 v5, v8
	v_mov_b32_e32 v6, v9
	s_waitcnt vmcnt(1)
	v_and_b32_e32 v3, v3, v5
	s_waitcnt vmcnt(0)
	v_mad_u64_u32 v[7:8], s[16:17], v3, 24, v[10:11]
	v_and_b32_e32 v4, v4, v6
	v_mov_b32_e32 v3, v8
	v_mad_u64_u32 v[3:4], s[16:17], v4, 24, v[3:4]
	v_mov_b32_e32 v8, v3
	global_load_dwordx2 v[3:4], v[7:8], off glc
	s_waitcnt vmcnt(0)
	global_atomic_cmpswap_x2 v[8:9], v2, v[3:6], s[10:11] offset:24 glc
	s_waitcnt vmcnt(0)
	buffer_wbinvl1_vol
	v_cmp_eq_u64_e32 vcc, v[8:9], v[5:6]
	s_or_b64 s[14:15], vcc, s[14:15]
	s_andn2_b64 exec, exec, s[14:15]
	s_cbranch_execnz .LBB6_386
; %bb.387:
	s_or_b64 exec, exec, s[14:15]
.LBB6_388:
	s_or_b64 exec, exec, s[12:13]
.LBB6_389:
	s_or_b64 exec, exec, s[2:3]
	v_mov_b32_e32 v3, 0
	global_load_dwordx2 v[10:11], v3, s[10:11] offset:40
	global_load_dwordx4 v[4:7], v3, s[10:11]
	v_readfirstlane_b32 s3, v9
	v_readfirstlane_b32 s2, v8
	s_mov_b64 s[12:13], exec
	s_waitcnt vmcnt(1)
	v_readfirstlane_b32 s14, v10
	v_readfirstlane_b32 s15, v11
	s_and_b64 s[14:15], s[14:15], s[2:3]
	s_mul_i32 s16, s15, 24
	s_mul_hi_u32 s17, s14, 24
	s_mul_i32 s18, s14, 24
	s_add_i32 s16, s17, s16
	v_mov_b32_e32 v2, s16
	s_waitcnt vmcnt(0)
	v_add_co_u32_e32 v8, vcc, s18, v4
	v_addc_co_u32_e32 v9, vcc, v5, v2, vcc
	s_and_saveexec_b64 s[16:17], s[0:1]
	s_cbranch_execz .LBB6_391
; %bb.390:
	v_mov_b32_e32 v10, s12
	v_mov_b32_e32 v11, s13
	;; [unrolled: 1-line block ×4, first 2 shown]
	global_store_dwordx4 v[8:9], v[10:13], off offset:8
.LBB6_391:
	s_or_b64 exec, exec, s[16:17]
	s_lshl_b64 s[12:13], s[14:15], 12
	v_mov_b32_e32 v2, s13
	v_add_co_u32_e32 v6, vcc, s12, v6
	v_addc_co_u32_e32 v7, vcc, v7, v2, vcc
	s_movk_i32 s12, 0xff1d
	v_and_or_b32 v0, v0, s12, 34
	s_mov_b32 s12, 0
	v_mov_b32_e32 v2, 32
	v_readfirstlane_b32 s16, v6
	v_readfirstlane_b32 s17, v7
	s_mov_b32 s13, s12
	s_mov_b32 s14, s12
	s_mov_b32 s15, s12
	s_nop 1
	global_store_dwordx4 v32, v[0:3], s[16:17]
	s_nop 0
	v_mov_b32_e32 v0, s12
	v_mov_b32_e32 v1, s13
	;; [unrolled: 1-line block ×4, first 2 shown]
	global_store_dwordx4 v32, v[0:3], s[16:17] offset:16
	global_store_dwordx4 v32, v[0:3], s[16:17] offset:32
	;; [unrolled: 1-line block ×3, first 2 shown]
	s_and_saveexec_b64 s[12:13], s[0:1]
	s_cbranch_execz .LBB6_399
; %bb.392:
	v_mov_b32_e32 v6, 0
	global_load_dwordx2 v[12:13], v6, s[10:11] offset:32 glc
	global_load_dwordx2 v[0:1], v6, s[10:11] offset:40
	v_mov_b32_e32 v10, s2
	v_mov_b32_e32 v11, s3
	s_waitcnt vmcnt(0)
	v_readfirstlane_b32 s14, v0
	v_readfirstlane_b32 s15, v1
	s_and_b64 s[14:15], s[14:15], s[2:3]
	s_mul_i32 s15, s15, 24
	s_mul_hi_u32 s16, s14, 24
	s_mul_i32 s14, s14, 24
	s_add_i32 s15, s16, s15
	v_mov_b32_e32 v0, s15
	v_add_co_u32_e32 v4, vcc, s14, v4
	v_addc_co_u32_e32 v5, vcc, v5, v0, vcc
	global_store_dwordx2 v[4:5], v[12:13], off
	s_waitcnt vmcnt(0)
	global_atomic_cmpswap_x2 v[2:3], v6, v[10:13], s[10:11] offset:32 glc
	s_waitcnt vmcnt(0)
	v_cmp_ne_u64_e32 vcc, v[2:3], v[12:13]
	s_and_saveexec_b64 s[14:15], vcc
	s_cbranch_execz .LBB6_395
; %bb.393:
	s_mov_b64 s[16:17], 0
.LBB6_394:                              ; =>This Inner Loop Header: Depth=1
	s_sleep 1
	global_store_dwordx2 v[4:5], v[2:3], off
	v_mov_b32_e32 v0, s2
	v_mov_b32_e32 v1, s3
	s_waitcnt vmcnt(0)
	global_atomic_cmpswap_x2 v[0:1], v6, v[0:3], s[10:11] offset:32 glc
	s_waitcnt vmcnt(0)
	v_cmp_eq_u64_e32 vcc, v[0:1], v[2:3]
	v_mov_b32_e32 v3, v1
	s_or_b64 s[16:17], vcc, s[16:17]
	v_mov_b32_e32 v2, v0
	s_andn2_b64 exec, exec, s[16:17]
	s_cbranch_execnz .LBB6_394
.LBB6_395:
	s_or_b64 exec, exec, s[14:15]
	v_mov_b32_e32 v3, 0
	global_load_dwordx2 v[0:1], v3, s[10:11] offset:16
	s_mov_b64 s[14:15], exec
	v_mbcnt_lo_u32_b32 v2, s14, 0
	v_mbcnt_hi_u32_b32 v2, s15, v2
	v_cmp_eq_u32_e32 vcc, 0, v2
	s_and_saveexec_b64 s[16:17], vcc
	s_cbranch_execz .LBB6_397
; %bb.396:
	s_bcnt1_i32_b64 s14, s[14:15]
	v_mov_b32_e32 v2, s14
	s_waitcnt vmcnt(0)
	global_atomic_add_x2 v[0:1], v[2:3], off offset:8
.LBB6_397:
	s_or_b64 exec, exec, s[16:17]
	s_waitcnt vmcnt(0)
	global_load_dwordx2 v[2:3], v[0:1], off offset:16
	s_waitcnt vmcnt(0)
	v_cmp_eq_u64_e32 vcc, 0, v[2:3]
	s_cbranch_vccnz .LBB6_399
; %bb.398:
	global_load_dword v0, v[0:1], off offset:24
	v_mov_b32_e32 v1, 0
	s_waitcnt vmcnt(0)
	v_readfirstlane_b32 s14, v0
	s_and_b32 m0, s14, 0xffffff
	global_store_dwordx2 v[2:3], v[0:1], off
	s_sendmsg sendmsg(MSG_INTERRUPT)
.LBB6_399:
	s_or_b64 exec, exec, s[12:13]
	s_branch .LBB6_403
.LBB6_400:                              ;   in Loop: Header=BB6_403 Depth=1
	s_or_b64 exec, exec, s[12:13]
	v_readfirstlane_b32 s12, v0
	s_cmp_eq_u32 s12, 0
	s_cbranch_scc1 .LBB6_402
; %bb.401:                              ;   in Loop: Header=BB6_403 Depth=1
	s_sleep 1
	s_cbranch_execnz .LBB6_403
	s_branch .LBB6_405
.LBB6_402:
	s_branch .LBB6_405
.LBB6_403:                              ; =>This Inner Loop Header: Depth=1
	v_mov_b32_e32 v0, 1
	s_and_saveexec_b64 s[12:13], s[0:1]
	s_cbranch_execz .LBB6_400
; %bb.404:                              ;   in Loop: Header=BB6_403 Depth=1
	global_load_dword v0, v[8:9], off offset:20 glc
	s_waitcnt vmcnt(0)
	buffer_wbinvl1_vol
	v_and_b32_e32 v0, 1, v0
	s_branch .LBB6_400
.LBB6_405:
	s_and_b64 exec, exec, s[0:1]
	s_cbranch_execz .LBB6_408
; %bb.406:
	v_mov_b32_e32 v6, 0
	global_load_dwordx2 v[0:1], v6, s[10:11] offset:40
	global_load_dwordx2 v[9:10], v6, s[10:11] offset:24 glc
	global_load_dwordx2 v[2:3], v6, s[10:11]
	s_waitcnt vmcnt(2)
	v_readfirstlane_b32 s12, v0
	v_readfirstlane_b32 s13, v1
	s_add_u32 s14, s12, 1
	s_addc_u32 s15, s13, 0
	s_add_u32 s0, s14, s2
	s_addc_u32 s1, s15, s3
	s_cmp_eq_u64 s[0:1], 0
	s_cselect_b32 s1, s15, s1
	s_cselect_b32 s0, s14, s0
	s_and_b64 s[2:3], s[0:1], s[12:13]
	s_mul_i32 s3, s3, 24
	s_mul_hi_u32 s12, s2, 24
	s_mul_i32 s2, s2, 24
	s_add_i32 s3, s12, s3
	v_mov_b32_e32 v0, s3
	s_waitcnt vmcnt(0)
	v_add_co_u32_e32 v4, vcc, s2, v2
	v_addc_co_u32_e32 v5, vcc, v3, v0, vcc
	v_mov_b32_e32 v7, s0
	global_store_dwordx2 v[4:5], v[9:10], off
	v_mov_b32_e32 v8, s1
	s_waitcnt vmcnt(0)
	global_atomic_cmpswap_x2 v[2:3], v6, v[7:10], s[10:11] offset:24 glc
	s_mov_b64 s[2:3], 0
	s_waitcnt vmcnt(0)
	v_cmp_ne_u64_e32 vcc, v[2:3], v[9:10]
	s_and_b64 exec, exec, vcc
	s_cbranch_execz .LBB6_408
.LBB6_407:                              ; =>This Inner Loop Header: Depth=1
	s_sleep 1
	global_store_dwordx2 v[4:5], v[2:3], off
	v_mov_b32_e32 v0, s0
	v_mov_b32_e32 v1, s1
	s_waitcnt vmcnt(0)
	global_atomic_cmpswap_x2 v[0:1], v6, v[0:3], s[10:11] offset:24 glc
	s_waitcnt vmcnt(0)
	v_cmp_eq_u64_e32 vcc, v[0:1], v[2:3]
	v_mov_b32_e32 v3, v1
	s_or_b64 s[2:3], vcc, s[2:3]
	v_mov_b32_e32 v2, v0
	s_andn2_b64 exec, exec, s[2:3]
	s_cbranch_execnz .LBB6_407
.LBB6_408:
	s_or_b64 exec, exec, s[8:9]
	v_and_b32_e32 v0, 0xffffffe0, v26
	v_ashrrev_i32_e32 v1, 31, v0
	v_lshlrev_b64 v[0:1], 2, v[0:1]
	v_mov_b32_e32 v2, s27
	v_add_co_u32_e32 v0, vcc, s28, v0
	v_and_b32_e32 v4, 31, v26
	v_addc_co_u32_e32 v1, vcc, v2, v1, vcc
	v_lshlrev_b32_e32 v2, 2, v4
	v_add_co_u32_e32 v2, vcc, v0, v2
	v_addc_co_u32_e32 v3, vcc, 0, v1, vcc
	v_cmp_gt_u32_e32 vcc, 16, v4
	s_waitcnt vmcnt(0) lgkmcnt(0)
	s_barrier
	flat_store_dword v[2:3], v26
	s_waitcnt vmcnt(0) lgkmcnt(0)
	buffer_wbinvl1_vol
	s_and_saveexec_b64 s[0:1], vcc
	s_cbranch_execz .LBB6_410
; %bb.409:
	flat_load_dword v5, v[2:3] offset:64
	s_waitcnt vmcnt(0) lgkmcnt(0)
	v_add_u32_e32 v31, v5, v26
.LBB6_410:
	s_or_b64 exec, exec, s[0:1]
	v_cmp_gt_u32_e32 vcc, 8, v4
	buffer_wbinvl1_vol
	flat_store_dword v[2:3], v31
	s_waitcnt vmcnt(0) lgkmcnt(0)
	buffer_wbinvl1_vol
	s_and_saveexec_b64 s[0:1], vcc
	s_cbranch_execz .LBB6_412
; %bb.411:
	flat_load_dword v5, v[2:3] offset:32
	s_waitcnt vmcnt(0) lgkmcnt(0)
	v_add_u32_e32 v31, v5, v31
.LBB6_412:
	s_or_b64 exec, exec, s[0:1]
	v_cmp_gt_u32_e32 vcc, 4, v4
	buffer_wbinvl1_vol
	;; [unrolled: 13-line block ×3, first 2 shown]
	flat_store_dword v[2:3], v31
	s_waitcnt vmcnt(0) lgkmcnt(0)
	buffer_wbinvl1_vol
	s_and_saveexec_b64 s[0:1], vcc
	s_cbranch_execz .LBB6_416
; %bb.415:
	flat_load_dword v5, v[2:3] offset:8
	s_waitcnt vmcnt(0) lgkmcnt(0)
	v_add_u32_e32 v31, v5, v31
.LBB6_416:
	s_or_b64 exec, exec, s[0:1]
	v_cmp_eq_u32_e64 s[0:1], 0, v4
	buffer_wbinvl1_vol
	flat_store_dword v[2:3], v31
	s_waitcnt vmcnt(0) lgkmcnt(0)
	buffer_wbinvl1_vol
	s_and_saveexec_b64 s[2:3], s[0:1]
	s_cbranch_execnz .LBB6_419
; %bb.417:
	s_or_b64 exec, exec, s[2:3]
	buffer_wbinvl1_vol
	s_and_saveexec_b64 s[2:3], s[0:1]
	s_cbranch_execnz .LBB6_420
.LBB6_418:
	s_endpgm
.LBB6_419:
	flat_load_dword v0, v[0:1] offset:4
	s_waitcnt vmcnt(0) lgkmcnt(0)
	v_add_u32_e32 v31, v0, v31
	s_or_b64 exec, exec, s[2:3]
	buffer_wbinvl1_vol
	s_and_saveexec_b64 s[2:3], s[0:1]
	s_cbranch_execz .LBB6_418
.LBB6_420:
	s_load_dwordx2 s[6:7], s[6:7], 0x50
	v_mbcnt_lo_u32_b32 v0, -1, 0
	v_mbcnt_hi_u32_b32 v33, -1, v0
	v_readfirstlane_b32 s2, v33
	v_mov_b32_e32 v5, 0
	v_mov_b32_e32 v6, 0
	v_cmp_eq_u32_e64 s[2:3], s2, v33
	s_and_saveexec_b64 s[8:9], s[2:3]
	s_cbranch_execz .LBB6_426
; %bb.421:
	v_mov_b32_e32 v0, 0
	s_waitcnt lgkmcnt(0)
	global_load_dwordx2 v[3:4], v0, s[6:7] offset:24 glc
	s_waitcnt vmcnt(0)
	buffer_wbinvl1_vol
	global_load_dwordx2 v[1:2], v0, s[6:7] offset:40
	global_load_dwordx2 v[5:6], v0, s[6:7]
	s_waitcnt vmcnt(1)
	v_and_b32_e32 v1, v1, v3
	v_and_b32_e32 v2, v2, v4
	v_mul_lo_u32 v2, v2, 24
	v_mul_hi_u32 v7, v1, 24
	v_mul_lo_u32 v1, v1, 24
	v_add_u32_e32 v2, v7, v2
	s_waitcnt vmcnt(0)
	v_add_co_u32_e32 v1, vcc, v5, v1
	v_addc_co_u32_e32 v2, vcc, v6, v2, vcc
	global_load_dwordx2 v[1:2], v[1:2], off glc
	s_waitcnt vmcnt(0)
	global_atomic_cmpswap_x2 v[5:6], v0, v[1:4], s[6:7] offset:24 glc
	s_waitcnt vmcnt(0)
	buffer_wbinvl1_vol
	v_cmp_ne_u64_e32 vcc, v[5:6], v[3:4]
	s_and_saveexec_b64 s[10:11], vcc
	s_cbranch_execz .LBB6_425
; %bb.422:
	s_mov_b64 s[12:13], 0
.LBB6_423:                              ; =>This Inner Loop Header: Depth=1
	s_sleep 1
	global_load_dwordx2 v[1:2], v0, s[6:7] offset:40
	global_load_dwordx2 v[7:8], v0, s[6:7]
	v_mov_b32_e32 v3, v5
	v_mov_b32_e32 v4, v6
	s_waitcnt vmcnt(1)
	v_and_b32_e32 v1, v1, v3
	s_waitcnt vmcnt(0)
	v_mad_u64_u32 v[5:6], s[14:15], v1, 24, v[7:8]
	v_and_b32_e32 v2, v2, v4
	v_mov_b32_e32 v1, v6
	v_mad_u64_u32 v[1:2], s[14:15], v2, 24, v[1:2]
	v_mov_b32_e32 v6, v1
	global_load_dwordx2 v[1:2], v[5:6], off glc
	s_waitcnt vmcnt(0)
	global_atomic_cmpswap_x2 v[5:6], v0, v[1:4], s[6:7] offset:24 glc
	s_waitcnt vmcnt(0)
	buffer_wbinvl1_vol
	v_cmp_eq_u64_e32 vcc, v[5:6], v[3:4]
	s_or_b64 s[12:13], vcc, s[12:13]
	s_andn2_b64 exec, exec, s[12:13]
	s_cbranch_execnz .LBB6_423
; %bb.424:
	s_or_b64 exec, exec, s[12:13]
.LBB6_425:
	s_or_b64 exec, exec, s[10:11]
.LBB6_426:
	s_or_b64 exec, exec, s[8:9]
	v_mov_b32_e32 v4, 0
	s_waitcnt lgkmcnt(0)
	global_load_dwordx2 v[7:8], v4, s[6:7] offset:40
	global_load_dwordx4 v[0:3], v4, s[6:7]
	v_readfirstlane_b32 s9, v6
	v_readfirstlane_b32 s8, v5
	s_mov_b64 s[10:11], exec
	s_waitcnt vmcnt(1)
	v_readfirstlane_b32 s12, v7
	v_readfirstlane_b32 s13, v8
	s_and_b64 s[12:13], s[12:13], s[8:9]
	s_mul_i32 s14, s13, 24
	s_mul_hi_u32 s15, s12, 24
	s_mul_i32 s16, s12, 24
	s_add_i32 s14, s15, s14
	v_mov_b32_e32 v5, s14
	s_waitcnt vmcnt(0)
	v_add_co_u32_e32 v7, vcc, s16, v0
	v_addc_co_u32_e32 v8, vcc, v1, v5, vcc
	s_and_saveexec_b64 s[14:15], s[2:3]
	s_cbranch_execz .LBB6_428
; %bb.427:
	v_mov_b32_e32 v9, s10
	v_mov_b32_e32 v10, s11
	;; [unrolled: 1-line block ×4, first 2 shown]
	global_store_dwordx4 v[7:8], v[9:12], off offset:8
.LBB6_428:
	s_or_b64 exec, exec, s[14:15]
	s_lshl_b64 s[10:11], s[12:13], 12
	v_mov_b32_e32 v5, s11
	v_add_co_u32_e32 v2, vcc, s10, v2
	v_addc_co_u32_e32 v11, vcc, v3, v5, vcc
	v_lshlrev_b32_e32 v32, 6, v33
	s_mov_b32 s12, 0
	v_mov_b32_e32 v3, 33
	v_mov_b32_e32 v5, v4
	;; [unrolled: 1-line block ×3, first 2 shown]
	v_readfirstlane_b32 s10, v2
	v_readfirstlane_b32 s11, v11
	v_add_co_u32_e32 v9, vcc, v2, v32
	s_mov_b32 s13, s12
	s_mov_b32 s14, s12
	s_mov_b32 s15, s12
	s_nop 0
	global_store_dwordx4 v32, v[3:6], s[10:11]
	v_mov_b32_e32 v2, s12
	v_addc_co_u32_e32 v10, vcc, 0, v11, vcc
	v_mov_b32_e32 v3, s13
	v_mov_b32_e32 v4, s14
	;; [unrolled: 1-line block ×3, first 2 shown]
	global_store_dwordx4 v32, v[2:5], s[10:11] offset:16
	global_store_dwordx4 v32, v[2:5], s[10:11] offset:32
	;; [unrolled: 1-line block ×3, first 2 shown]
	s_and_saveexec_b64 s[10:11], s[2:3]
	s_cbranch_execz .LBB6_436
; %bb.429:
	v_mov_b32_e32 v6, 0
	global_load_dwordx2 v[13:14], v6, s[6:7] offset:32 glc
	global_load_dwordx2 v[2:3], v6, s[6:7] offset:40
	v_mov_b32_e32 v11, s8
	v_mov_b32_e32 v12, s9
	s_waitcnt vmcnt(0)
	v_and_b32_e32 v2, s8, v2
	v_and_b32_e32 v3, s9, v3
	v_mul_lo_u32 v3, v3, 24
	v_mul_hi_u32 v4, v2, 24
	v_mul_lo_u32 v2, v2, 24
	v_add_u32_e32 v3, v4, v3
	v_add_co_u32_e32 v4, vcc, v0, v2
	v_addc_co_u32_e32 v5, vcc, v1, v3, vcc
	global_store_dwordx2 v[4:5], v[13:14], off
	s_waitcnt vmcnt(0)
	global_atomic_cmpswap_x2 v[2:3], v6, v[11:14], s[6:7] offset:32 glc
	s_waitcnt vmcnt(0)
	v_cmp_ne_u64_e32 vcc, v[2:3], v[13:14]
	s_and_saveexec_b64 s[12:13], vcc
	s_cbranch_execz .LBB6_432
; %bb.430:
	s_mov_b64 s[14:15], 0
.LBB6_431:                              ; =>This Inner Loop Header: Depth=1
	s_sleep 1
	global_store_dwordx2 v[4:5], v[2:3], off
	v_mov_b32_e32 v0, s8
	v_mov_b32_e32 v1, s9
	s_waitcnt vmcnt(0)
	global_atomic_cmpswap_x2 v[0:1], v6, v[0:3], s[6:7] offset:32 glc
	s_waitcnt vmcnt(0)
	v_cmp_eq_u64_e32 vcc, v[0:1], v[2:3]
	v_mov_b32_e32 v3, v1
	s_or_b64 s[14:15], vcc, s[14:15]
	v_mov_b32_e32 v2, v0
	s_andn2_b64 exec, exec, s[14:15]
	s_cbranch_execnz .LBB6_431
.LBB6_432:
	s_or_b64 exec, exec, s[12:13]
	v_mov_b32_e32 v3, 0
	global_load_dwordx2 v[0:1], v3, s[6:7] offset:16
	s_mov_b64 s[12:13], exec
	v_mbcnt_lo_u32_b32 v2, s12, 0
	v_mbcnt_hi_u32_b32 v2, s13, v2
	v_cmp_eq_u32_e32 vcc, 0, v2
	s_and_saveexec_b64 s[14:15], vcc
	s_cbranch_execz .LBB6_434
; %bb.433:
	s_bcnt1_i32_b64 s12, s[12:13]
	v_mov_b32_e32 v2, s12
	s_waitcnt vmcnt(0)
	global_atomic_add_x2 v[0:1], v[2:3], off offset:8
.LBB6_434:
	s_or_b64 exec, exec, s[14:15]
	s_waitcnt vmcnt(0)
	global_load_dwordx2 v[2:3], v[0:1], off offset:16
	s_waitcnt vmcnt(0)
	v_cmp_eq_u64_e32 vcc, 0, v[2:3]
	s_cbranch_vccnz .LBB6_436
; %bb.435:
	global_load_dword v0, v[0:1], off offset:24
	v_mov_b32_e32 v1, 0
	s_waitcnt vmcnt(0)
	v_readfirstlane_b32 s12, v0
	s_and_b32 m0, s12, 0xffffff
	global_store_dwordx2 v[2:3], v[0:1], off
	s_sendmsg sendmsg(MSG_INTERRUPT)
.LBB6_436:
	s_or_b64 exec, exec, s[10:11]
	s_branch .LBB6_440
.LBB6_437:                              ;   in Loop: Header=BB6_440 Depth=1
	s_or_b64 exec, exec, s[10:11]
	v_readfirstlane_b32 s10, v0
	s_cmp_eq_u32 s10, 0
	s_cbranch_scc1 .LBB6_439
; %bb.438:                              ;   in Loop: Header=BB6_440 Depth=1
	s_sleep 1
	s_cbranch_execnz .LBB6_440
	s_branch .LBB6_442
.LBB6_439:
	s_branch .LBB6_442
.LBB6_440:                              ; =>This Inner Loop Header: Depth=1
	v_mov_b32_e32 v0, 1
	s_and_saveexec_b64 s[10:11], s[2:3]
	s_cbranch_execz .LBB6_437
; %bb.441:                              ;   in Loop: Header=BB6_440 Depth=1
	global_load_dword v0, v[7:8], off offset:20 glc
	s_waitcnt vmcnt(0)
	buffer_wbinvl1_vol
	v_and_b32_e32 v0, 1, v0
	s_branch .LBB6_437
.LBB6_442:
	global_load_dwordx2 v[0:1], v[9:10], off
	s_and_saveexec_b64 s[10:11], s[2:3]
	s_cbranch_execz .LBB6_445
; %bb.443:
	v_mov_b32_e32 v8, 0
	global_load_dwordx2 v[2:3], v8, s[6:7] offset:40
	global_load_dwordx2 v[11:12], v8, s[6:7] offset:24 glc
	global_load_dwordx2 v[4:5], v8, s[6:7]
	s_waitcnt vmcnt(2)
	v_readfirstlane_b32 s12, v2
	v_readfirstlane_b32 s13, v3
	s_add_u32 s14, s12, 1
	s_addc_u32 s15, s13, 0
	s_add_u32 s2, s14, s8
	s_addc_u32 s3, s15, s9
	s_cmp_eq_u64 s[2:3], 0
	s_cselect_b32 s3, s15, s3
	s_cselect_b32 s2, s14, s2
	s_and_b64 s[8:9], s[2:3], s[12:13]
	s_mul_i32 s9, s9, 24
	s_mul_hi_u32 s12, s8, 24
	s_mul_i32 s8, s8, 24
	s_add_i32 s9, s12, s9
	v_mov_b32_e32 v2, s9
	s_waitcnt vmcnt(0)
	v_add_co_u32_e32 v6, vcc, s8, v4
	v_addc_co_u32_e32 v7, vcc, v5, v2, vcc
	v_mov_b32_e32 v9, s2
	global_store_dwordx2 v[6:7], v[11:12], off
	v_mov_b32_e32 v10, s3
	s_waitcnt vmcnt(0)
	global_atomic_cmpswap_x2 v[4:5], v8, v[9:12], s[6:7] offset:24 glc
	s_mov_b64 s[8:9], 0
	s_waitcnt vmcnt(0)
	v_cmp_ne_u64_e32 vcc, v[4:5], v[11:12]
	s_and_b64 exec, exec, vcc
	s_cbranch_execz .LBB6_445
.LBB6_444:                              ; =>This Inner Loop Header: Depth=1
	s_sleep 1
	global_store_dwordx2 v[6:7], v[4:5], off
	v_mov_b32_e32 v2, s2
	v_mov_b32_e32 v3, s3
	s_waitcnt vmcnt(0)
	global_atomic_cmpswap_x2 v[2:3], v8, v[2:5], s[6:7] offset:24 glc
	s_waitcnt vmcnt(0)
	v_cmp_eq_u64_e32 vcc, v[2:3], v[4:5]
	v_mov_b32_e32 v5, v3
	s_or_b64 s[8:9], vcc, s[8:9]
	v_mov_b32_e32 v4, v2
	s_andn2_b64 exec, exec, s[8:9]
	s_cbranch_execnz .LBB6_444
.LBB6_445:
	s_or_b64 exec, exec, s[10:11]
	s_getpc_b64 s[8:9]
	s_add_u32 s8, s8, .str.9@rel32@lo+4
	s_addc_u32 s9, s9, .str.9@rel32@hi+12
	s_cmp_lg_u64 s[8:9], 0
	s_cselect_b64 s[2:3], -1, 0
	s_cmp_eq_u64 s[8:9], 0
	s_mov_b64 s[8:9], 0
	s_cbranch_scc1 .LBB6_449
; %bb.446:
	v_mov_b32_e32 v2, 0
	s_getpc_b64 s[8:9]
	s_add_u32 s8, s8, .str.9@rel32@lo+3
	s_addc_u32 s9, s9, .str.9@rel32@hi+11
.LBB6_447:                              ; =>This Inner Loop Header: Depth=1
	global_load_ubyte v3, v2, s[8:9] offset:1
	s_add_u32 s10, s8, 1
	s_addc_u32 s11, s9, 0
	s_mov_b64 s[8:9], s[10:11]
	s_waitcnt vmcnt(0)
	v_cmp_ne_u32_e32 vcc, 0, v3
	s_cbranch_vccnz .LBB6_447
; %bb.448:
	s_getpc_b64 s[8:9]
	s_add_u32 s8, s8, .str.9@rel32@lo+4
	s_addc_u32 s9, s9, .str.9@rel32@hi+12
	s_sub_u32 s8, s10, s8
	s_subb_u32 s9, s11, s9
	s_add_u32 s8, s8, 1
	s_addc_u32 s9, s9, 0
.LBB6_449:
	s_and_b64 vcc, exec, s[2:3]
	s_cbranch_vccz .LBB6_535
; %bb.450:
	s_waitcnt vmcnt(0)
	v_and_b32_e32 v34, 2, v0
	v_mov_b32_e32 v28, 0
	v_and_b32_e32 v2, -3, v0
	v_mov_b32_e32 v3, v1
	v_mov_b32_e32 v8, 2
	;; [unrolled: 1-line block ×3, first 2 shown]
	s_getpc_b64 s[10:11]
	s_add_u32 s10, s10, .str.9@rel32@lo+4
	s_addc_u32 s11, s11, .str.9@rel32@hi+12
	s_branch .LBB6_452
.LBB6_451:                              ;   in Loop: Header=BB6_452 Depth=1
	s_or_b64 exec, exec, s[16:17]
	s_sub_u32 s8, s8, s12
	s_subb_u32 s9, s9, s13
	s_add_u32 s10, s10, s12
	s_addc_u32 s11, s11, s13
	s_cmp_lg_u64 s[8:9], 0
	s_cbranch_scc0 .LBB6_534
.LBB6_452:                              ; =>This Loop Header: Depth=1
                                        ;     Child Loop BB6_455 Depth 2
                                        ;     Child Loop BB6_463 Depth 2
	;; [unrolled: 1-line block ×11, first 2 shown]
	v_cmp_lt_u64_e64 s[2:3], s[8:9], 56
	v_cmp_gt_u64_e64 s[14:15], s[8:9], 7
	s_and_b64 s[2:3], s[2:3], exec
	s_cselect_b32 s13, s9, 0
	s_cselect_b32 s12, s8, 56
	s_add_u32 s2, s10, 8
	s_addc_u32 s3, s11, 0
	s_and_b64 vcc, exec, s[14:15]
	s_cbranch_vccnz .LBB6_456
; %bb.453:                              ;   in Loop: Header=BB6_452 Depth=1
	s_cmp_eq_u64 s[8:9], 0
	s_cbranch_scc1 .LBB6_457
; %bb.454:                              ;   in Loop: Header=BB6_452 Depth=1
	v_mov_b32_e32 v4, 0
	s_lshl_b64 s[2:3], s[12:13], 3
	s_mov_b64 s[14:15], 0
	v_mov_b32_e32 v5, 0
	s_mov_b64 s[16:17], s[10:11]
.LBB6_455:                              ;   Parent Loop BB6_452 Depth=1
                                        ; =>  This Inner Loop Header: Depth=2
	global_load_ubyte v6, v28, s[16:17]
	s_waitcnt vmcnt(0)
	v_and_b32_e32 v27, 0xffff, v6
	v_lshlrev_b64 v[6:7], s14, v[27:28]
	s_add_u32 s14, s14, 8
	s_addc_u32 s15, s15, 0
	s_add_u32 s16, s16, 1
	s_addc_u32 s17, s17, 0
	v_or_b32_e32 v4, v6, v4
	s_cmp_lg_u32 s2, s14
	v_or_b32_e32 v5, v7, v5
	s_cbranch_scc1 .LBB6_455
	s_branch .LBB6_458
.LBB6_456:                              ;   in Loop: Header=BB6_452 Depth=1
	s_mov_b32 s18, 0
	s_branch .LBB6_459
.LBB6_457:                              ;   in Loop: Header=BB6_452 Depth=1
	v_mov_b32_e32 v4, 0
	v_mov_b32_e32 v5, 0
.LBB6_458:                              ;   in Loop: Header=BB6_452 Depth=1
	s_mov_b64 s[2:3], s[10:11]
	s_mov_b32 s18, 0
	s_cbranch_execnz .LBB6_460
.LBB6_459:                              ;   in Loop: Header=BB6_452 Depth=1
	global_load_dwordx2 v[4:5], v28, s[10:11]
	s_add_i32 s18, s12, -8
.LBB6_460:                              ;   in Loop: Header=BB6_452 Depth=1
	s_add_u32 s14, s2, 8
	s_addc_u32 s15, s3, 0
	s_cmp_gt_u32 s18, 7
	s_cbranch_scc1 .LBB6_464
; %bb.461:                              ;   in Loop: Header=BB6_452 Depth=1
	s_cmp_eq_u32 s18, 0
	s_cbranch_scc1 .LBB6_465
; %bb.462:                              ;   in Loop: Header=BB6_452 Depth=1
	v_mov_b32_e32 v10, 0
	s_mov_b64 s[14:15], 0
	v_mov_b32_e32 v11, 0
	s_mov_b64 s[16:17], 0
.LBB6_463:                              ;   Parent Loop BB6_452 Depth=1
                                        ; =>  This Inner Loop Header: Depth=2
	s_add_u32 s20, s2, s16
	s_addc_u32 s21, s3, s17
	global_load_ubyte v6, v28, s[20:21]
	s_add_u32 s16, s16, 1
	s_addc_u32 s17, s17, 0
	s_waitcnt vmcnt(0)
	v_and_b32_e32 v27, 0xffff, v6
	v_lshlrev_b64 v[6:7], s14, v[27:28]
	s_add_u32 s14, s14, 8
	s_addc_u32 s15, s15, 0
	v_or_b32_e32 v10, v6, v10
	s_cmp_lg_u32 s18, s16
	v_or_b32_e32 v11, v7, v11
	s_cbranch_scc1 .LBB6_463
	s_branch .LBB6_466
.LBB6_464:                              ;   in Loop: Header=BB6_452 Depth=1
                                        ; implicit-def: $vgpr10_vgpr11
	s_mov_b32 s19, 0
	s_branch .LBB6_467
.LBB6_465:                              ;   in Loop: Header=BB6_452 Depth=1
	v_mov_b32_e32 v10, 0
	v_mov_b32_e32 v11, 0
.LBB6_466:                              ;   in Loop: Header=BB6_452 Depth=1
	s_mov_b64 s[14:15], s[2:3]
	s_mov_b32 s19, 0
	s_cbranch_execnz .LBB6_468
.LBB6_467:                              ;   in Loop: Header=BB6_452 Depth=1
	global_load_dwordx2 v[10:11], v28, s[2:3]
	s_add_i32 s19, s18, -8
.LBB6_468:                              ;   in Loop: Header=BB6_452 Depth=1
	s_add_u32 s2, s14, 8
	s_addc_u32 s3, s15, 0
	s_cmp_gt_u32 s19, 7
	s_cbranch_scc1 .LBB6_472
; %bb.469:                              ;   in Loop: Header=BB6_452 Depth=1
	s_cmp_eq_u32 s19, 0
	s_cbranch_scc1 .LBB6_473
; %bb.470:                              ;   in Loop: Header=BB6_452 Depth=1
	v_mov_b32_e32 v12, 0
	s_mov_b64 s[2:3], 0
	v_mov_b32_e32 v13, 0
	s_mov_b64 s[16:17], 0
.LBB6_471:                              ;   Parent Loop BB6_452 Depth=1
                                        ; =>  This Inner Loop Header: Depth=2
	s_add_u32 s20, s14, s16
	s_addc_u32 s21, s15, s17
	global_load_ubyte v6, v28, s[20:21]
	s_add_u32 s16, s16, 1
	s_addc_u32 s17, s17, 0
	s_waitcnt vmcnt(0)
	v_and_b32_e32 v27, 0xffff, v6
	v_lshlrev_b64 v[6:7], s2, v[27:28]
	s_add_u32 s2, s2, 8
	s_addc_u32 s3, s3, 0
	v_or_b32_e32 v12, v6, v12
	s_cmp_lg_u32 s19, s16
	v_or_b32_e32 v13, v7, v13
	s_cbranch_scc1 .LBB6_471
	s_branch .LBB6_474
.LBB6_472:                              ;   in Loop: Header=BB6_452 Depth=1
	s_mov_b32 s18, 0
	s_branch .LBB6_475
.LBB6_473:                              ;   in Loop: Header=BB6_452 Depth=1
	v_mov_b32_e32 v12, 0
	v_mov_b32_e32 v13, 0
.LBB6_474:                              ;   in Loop: Header=BB6_452 Depth=1
	s_mov_b64 s[2:3], s[14:15]
	s_mov_b32 s18, 0
	s_cbranch_execnz .LBB6_476
.LBB6_475:                              ;   in Loop: Header=BB6_452 Depth=1
	global_load_dwordx2 v[12:13], v28, s[14:15]
	s_add_i32 s18, s19, -8
.LBB6_476:                              ;   in Loop: Header=BB6_452 Depth=1
	s_add_u32 s14, s2, 8
	s_addc_u32 s15, s3, 0
	s_cmp_gt_u32 s18, 7
	s_cbranch_scc1 .LBB6_480
; %bb.477:                              ;   in Loop: Header=BB6_452 Depth=1
	s_cmp_eq_u32 s18, 0
	s_cbranch_scc1 .LBB6_481
; %bb.478:                              ;   in Loop: Header=BB6_452 Depth=1
	v_mov_b32_e32 v14, 0
	s_mov_b64 s[14:15], 0
	v_mov_b32_e32 v15, 0
	s_mov_b64 s[16:17], 0
.LBB6_479:                              ;   Parent Loop BB6_452 Depth=1
                                        ; =>  This Inner Loop Header: Depth=2
	s_add_u32 s20, s2, s16
	s_addc_u32 s21, s3, s17
	global_load_ubyte v6, v28, s[20:21]
	s_add_u32 s16, s16, 1
	s_addc_u32 s17, s17, 0
	s_waitcnt vmcnt(0)
	v_and_b32_e32 v27, 0xffff, v6
	v_lshlrev_b64 v[6:7], s14, v[27:28]
	s_add_u32 s14, s14, 8
	s_addc_u32 s15, s15, 0
	v_or_b32_e32 v14, v6, v14
	s_cmp_lg_u32 s18, s16
	v_or_b32_e32 v15, v7, v15
	s_cbranch_scc1 .LBB6_479
	s_branch .LBB6_482
.LBB6_480:                              ;   in Loop: Header=BB6_452 Depth=1
                                        ; implicit-def: $vgpr14_vgpr15
	s_mov_b32 s19, 0
	s_branch .LBB6_483
.LBB6_481:                              ;   in Loop: Header=BB6_452 Depth=1
	v_mov_b32_e32 v14, 0
	v_mov_b32_e32 v15, 0
.LBB6_482:                              ;   in Loop: Header=BB6_452 Depth=1
	s_mov_b64 s[14:15], s[2:3]
	s_mov_b32 s19, 0
	s_cbranch_execnz .LBB6_484
.LBB6_483:                              ;   in Loop: Header=BB6_452 Depth=1
	global_load_dwordx2 v[14:15], v28, s[2:3]
	s_add_i32 s19, s18, -8
.LBB6_484:                              ;   in Loop: Header=BB6_452 Depth=1
	s_add_u32 s2, s14, 8
	s_addc_u32 s3, s15, 0
	s_cmp_gt_u32 s19, 7
	s_cbranch_scc1 .LBB6_488
; %bb.485:                              ;   in Loop: Header=BB6_452 Depth=1
	s_cmp_eq_u32 s19, 0
	s_cbranch_scc1 .LBB6_489
; %bb.486:                              ;   in Loop: Header=BB6_452 Depth=1
	v_mov_b32_e32 v16, 0
	s_mov_b64 s[2:3], 0
	v_mov_b32_e32 v17, 0
	s_mov_b64 s[16:17], 0
.LBB6_487:                              ;   Parent Loop BB6_452 Depth=1
                                        ; =>  This Inner Loop Header: Depth=2
	s_add_u32 s20, s14, s16
	s_addc_u32 s21, s15, s17
	global_load_ubyte v6, v28, s[20:21]
	s_add_u32 s16, s16, 1
	s_addc_u32 s17, s17, 0
	s_waitcnt vmcnt(0)
	v_and_b32_e32 v27, 0xffff, v6
	v_lshlrev_b64 v[6:7], s2, v[27:28]
	s_add_u32 s2, s2, 8
	s_addc_u32 s3, s3, 0
	v_or_b32_e32 v16, v6, v16
	s_cmp_lg_u32 s19, s16
	v_or_b32_e32 v17, v7, v17
	s_cbranch_scc1 .LBB6_487
	s_branch .LBB6_490
.LBB6_488:                              ;   in Loop: Header=BB6_452 Depth=1
	s_mov_b32 s18, 0
	s_branch .LBB6_491
.LBB6_489:                              ;   in Loop: Header=BB6_452 Depth=1
	v_mov_b32_e32 v16, 0
	v_mov_b32_e32 v17, 0
.LBB6_490:                              ;   in Loop: Header=BB6_452 Depth=1
	s_mov_b64 s[2:3], s[14:15]
	s_mov_b32 s18, 0
	s_cbranch_execnz .LBB6_492
.LBB6_491:                              ;   in Loop: Header=BB6_452 Depth=1
	global_load_dwordx2 v[16:17], v28, s[14:15]
	s_add_i32 s18, s19, -8
.LBB6_492:                              ;   in Loop: Header=BB6_452 Depth=1
	s_add_u32 s14, s2, 8
	s_addc_u32 s15, s3, 0
	s_cmp_gt_u32 s18, 7
	s_cbranch_scc1 .LBB6_496
; %bb.493:                              ;   in Loop: Header=BB6_452 Depth=1
	s_cmp_eq_u32 s18, 0
	s_cbranch_scc1 .LBB6_497
; %bb.494:                              ;   in Loop: Header=BB6_452 Depth=1
	v_mov_b32_e32 v18, 0
	s_mov_b64 s[14:15], 0
	v_mov_b32_e32 v19, 0
	s_mov_b64 s[16:17], 0
.LBB6_495:                              ;   Parent Loop BB6_452 Depth=1
                                        ; =>  This Inner Loop Header: Depth=2
	s_add_u32 s20, s2, s16
	s_addc_u32 s21, s3, s17
	global_load_ubyte v6, v28, s[20:21]
	s_add_u32 s16, s16, 1
	s_addc_u32 s17, s17, 0
	s_waitcnt vmcnt(0)
	v_and_b32_e32 v27, 0xffff, v6
	v_lshlrev_b64 v[6:7], s14, v[27:28]
	s_add_u32 s14, s14, 8
	s_addc_u32 s15, s15, 0
	v_or_b32_e32 v18, v6, v18
	s_cmp_lg_u32 s18, s16
	v_or_b32_e32 v19, v7, v19
	s_cbranch_scc1 .LBB6_495
	s_branch .LBB6_498
.LBB6_496:                              ;   in Loop: Header=BB6_452 Depth=1
                                        ; implicit-def: $vgpr18_vgpr19
	s_mov_b32 s19, 0
	s_branch .LBB6_499
.LBB6_497:                              ;   in Loop: Header=BB6_452 Depth=1
	v_mov_b32_e32 v18, 0
	v_mov_b32_e32 v19, 0
.LBB6_498:                              ;   in Loop: Header=BB6_452 Depth=1
	s_mov_b64 s[14:15], s[2:3]
	s_mov_b32 s19, 0
	s_cbranch_execnz .LBB6_500
.LBB6_499:                              ;   in Loop: Header=BB6_452 Depth=1
	global_load_dwordx2 v[18:19], v28, s[2:3]
	s_add_i32 s19, s18, -8
.LBB6_500:                              ;   in Loop: Header=BB6_452 Depth=1
	s_cmp_gt_u32 s19, 7
	s_cbranch_scc1 .LBB6_504
; %bb.501:                              ;   in Loop: Header=BB6_452 Depth=1
	s_cmp_eq_u32 s19, 0
	s_cbranch_scc1 .LBB6_505
; %bb.502:                              ;   in Loop: Header=BB6_452 Depth=1
	v_mov_b32_e32 v20, 0
	s_mov_b64 s[2:3], 0
	v_mov_b32_e32 v21, 0
	s_mov_b64 s[16:17], s[14:15]
.LBB6_503:                              ;   Parent Loop BB6_452 Depth=1
                                        ; =>  This Inner Loop Header: Depth=2
	global_load_ubyte v6, v28, s[16:17]
	s_add_i32 s19, s19, -1
	s_waitcnt vmcnt(0)
	v_and_b32_e32 v27, 0xffff, v6
	v_lshlrev_b64 v[6:7], s2, v[27:28]
	s_add_u32 s2, s2, 8
	s_addc_u32 s3, s3, 0
	s_add_u32 s16, s16, 1
	s_addc_u32 s17, s17, 0
	v_or_b32_e32 v20, v6, v20
	s_cmp_lg_u32 s19, 0
	v_or_b32_e32 v21, v7, v21
	s_cbranch_scc1 .LBB6_503
	s_branch .LBB6_506
.LBB6_504:                              ;   in Loop: Header=BB6_452 Depth=1
	s_branch .LBB6_507
.LBB6_505:                              ;   in Loop: Header=BB6_452 Depth=1
	v_mov_b32_e32 v20, 0
	v_mov_b32_e32 v21, 0
.LBB6_506:                              ;   in Loop: Header=BB6_452 Depth=1
	s_cbranch_execnz .LBB6_508
.LBB6_507:                              ;   in Loop: Header=BB6_452 Depth=1
	global_load_dwordx2 v[20:21], v28, s[14:15]
.LBB6_508:                              ;   in Loop: Header=BB6_452 Depth=1
	v_readfirstlane_b32 s2, v33
	v_mov_b32_e32 v6, 0
	v_mov_b32_e32 v7, 0
	v_cmp_eq_u32_e64 s[2:3], s2, v33
	s_and_saveexec_b64 s[14:15], s[2:3]
	s_cbranch_execz .LBB6_514
; %bb.509:                              ;   in Loop: Header=BB6_452 Depth=1
	global_load_dwordx2 v[24:25], v28, s[6:7] offset:24 glc
	s_waitcnt vmcnt(0)
	buffer_wbinvl1_vol
	global_load_dwordx2 v[6:7], v28, s[6:7] offset:40
	global_load_dwordx2 v[22:23], v28, s[6:7]
	s_waitcnt vmcnt(1)
	v_and_b32_e32 v6, v6, v24
	v_and_b32_e32 v7, v7, v25
	v_mul_lo_u32 v7, v7, 24
	v_mul_hi_u32 v27, v6, 24
	v_mul_lo_u32 v6, v6, 24
	v_add_u32_e32 v7, v27, v7
	s_waitcnt vmcnt(0)
	v_add_co_u32_e32 v6, vcc, v22, v6
	v_addc_co_u32_e32 v7, vcc, v23, v7, vcc
	global_load_dwordx2 v[22:23], v[6:7], off glc
	s_waitcnt vmcnt(0)
	global_atomic_cmpswap_x2 v[6:7], v28, v[22:25], s[6:7] offset:24 glc
	s_waitcnt vmcnt(0)
	buffer_wbinvl1_vol
	v_cmp_ne_u64_e32 vcc, v[6:7], v[24:25]
	s_and_saveexec_b64 s[16:17], vcc
	s_cbranch_execz .LBB6_513
; %bb.510:                              ;   in Loop: Header=BB6_452 Depth=1
	s_mov_b64 s[18:19], 0
.LBB6_511:                              ;   Parent Loop BB6_452 Depth=1
                                        ; =>  This Inner Loop Header: Depth=2
	s_sleep 1
	global_load_dwordx2 v[22:23], v28, s[6:7] offset:40
	global_load_dwordx2 v[29:30], v28, s[6:7]
	v_mov_b32_e32 v25, v7
	v_mov_b32_e32 v24, v6
	s_waitcnt vmcnt(1)
	v_and_b32_e32 v6, v22, v24
	s_waitcnt vmcnt(0)
	v_mad_u64_u32 v[6:7], s[20:21], v6, 24, v[29:30]
	v_and_b32_e32 v22, v23, v25
	v_mad_u64_u32 v[22:23], s[20:21], v22, 24, v[7:8]
	v_mov_b32_e32 v7, v22
	global_load_dwordx2 v[22:23], v[6:7], off glc
	s_waitcnt vmcnt(0)
	global_atomic_cmpswap_x2 v[6:7], v28, v[22:25], s[6:7] offset:24 glc
	s_waitcnt vmcnt(0)
	buffer_wbinvl1_vol
	v_cmp_eq_u64_e32 vcc, v[6:7], v[24:25]
	s_or_b64 s[18:19], vcc, s[18:19]
	s_andn2_b64 exec, exec, s[18:19]
	s_cbranch_execnz .LBB6_511
; %bb.512:                              ;   in Loop: Header=BB6_452 Depth=1
	s_or_b64 exec, exec, s[18:19]
.LBB6_513:                              ;   in Loop: Header=BB6_452 Depth=1
	s_or_b64 exec, exec, s[16:17]
.LBB6_514:                              ;   in Loop: Header=BB6_452 Depth=1
	s_or_b64 exec, exec, s[14:15]
	global_load_dwordx2 v[29:30], v28, s[6:7] offset:40
	global_load_dwordx4 v[22:25], v28, s[6:7]
	v_readfirstlane_b32 s15, v7
	v_readfirstlane_b32 s14, v6
	s_mov_b64 s[16:17], exec
	s_waitcnt vmcnt(1)
	v_readfirstlane_b32 s18, v29
	v_readfirstlane_b32 s19, v30
	s_and_b64 s[18:19], s[18:19], s[14:15]
	s_mul_i32 s20, s19, 24
	s_mul_hi_u32 s21, s18, 24
	s_mul_i32 s22, s18, 24
	s_add_i32 s20, s21, s20
	v_mov_b32_e32 v6, s20
	s_waitcnt vmcnt(0)
	v_add_co_u32_e32 v29, vcc, s22, v22
	v_addc_co_u32_e32 v30, vcc, v23, v6, vcc
	s_and_saveexec_b64 s[20:21], s[2:3]
	s_cbranch_execz .LBB6_516
; %bb.515:                              ;   in Loop: Header=BB6_452 Depth=1
	v_mov_b32_e32 v6, s16
	v_mov_b32_e32 v7, s17
	global_store_dwordx4 v[29:30], v[6:9], off offset:8
.LBB6_516:                              ;   in Loop: Header=BB6_452 Depth=1
	s_or_b64 exec, exec, s[20:21]
	s_lshl_b64 s[16:17], s[18:19], 12
	v_mov_b32_e32 v6, s17
	v_add_co_u32_e32 v24, vcc, s16, v24
	v_addc_co_u32_e32 v25, vcc, v25, v6, vcc
	v_cmp_lt_u64_e64 vcc, s[8:9], 57
	s_lshl_b32 s16, s12, 2
	v_cndmask_b32_e32 v6, 0, v34, vcc
	s_add_i32 s16, s16, 28
	v_and_b32_e32 v2, 0xffffff1f, v2
	s_and_b32 s16, s16, 0x1e0
	v_or_b32_e32 v2, v2, v6
	v_or_b32_e32 v2, s16, v2
	v_readfirstlane_b32 s16, v24
	v_readfirstlane_b32 s17, v25
	s_nop 4
	global_store_dwordx4 v32, v[2:5], s[16:17]
	global_store_dwordx4 v32, v[10:13], s[16:17] offset:16
	global_store_dwordx4 v32, v[14:17], s[16:17] offset:32
	;; [unrolled: 1-line block ×3, first 2 shown]
	s_and_saveexec_b64 s[16:17], s[2:3]
	s_cbranch_execz .LBB6_524
; %bb.517:                              ;   in Loop: Header=BB6_452 Depth=1
	global_load_dwordx2 v[12:13], v28, s[6:7] offset:32 glc
	global_load_dwordx2 v[2:3], v28, s[6:7] offset:40
	v_mov_b32_e32 v10, s14
	v_mov_b32_e32 v11, s15
	s_waitcnt vmcnt(0)
	v_readfirstlane_b32 s18, v2
	v_readfirstlane_b32 s19, v3
	s_and_b64 s[18:19], s[18:19], s[14:15]
	s_mul_i32 s19, s19, 24
	s_mul_hi_u32 s20, s18, 24
	s_mul_i32 s18, s18, 24
	s_add_i32 s19, s20, s19
	v_mov_b32_e32 v2, s19
	v_add_co_u32_e32 v6, vcc, s18, v22
	v_addc_co_u32_e32 v7, vcc, v23, v2, vcc
	global_store_dwordx2 v[6:7], v[12:13], off
	s_waitcnt vmcnt(0)
	global_atomic_cmpswap_x2 v[4:5], v28, v[10:13], s[6:7] offset:32 glc
	s_waitcnt vmcnt(0)
	v_cmp_ne_u64_e32 vcc, v[4:5], v[12:13]
	s_and_saveexec_b64 s[18:19], vcc
	s_cbranch_execz .LBB6_520
; %bb.518:                              ;   in Loop: Header=BB6_452 Depth=1
	s_mov_b64 s[20:21], 0
.LBB6_519:                              ;   Parent Loop BB6_452 Depth=1
                                        ; =>  This Inner Loop Header: Depth=2
	s_sleep 1
	global_store_dwordx2 v[6:7], v[4:5], off
	v_mov_b32_e32 v2, s14
	v_mov_b32_e32 v3, s15
	s_waitcnt vmcnt(0)
	global_atomic_cmpswap_x2 v[2:3], v28, v[2:5], s[6:7] offset:32 glc
	s_waitcnt vmcnt(0)
	v_cmp_eq_u64_e32 vcc, v[2:3], v[4:5]
	v_mov_b32_e32 v5, v3
	s_or_b64 s[20:21], vcc, s[20:21]
	v_mov_b32_e32 v4, v2
	s_andn2_b64 exec, exec, s[20:21]
	s_cbranch_execnz .LBB6_519
.LBB6_520:                              ;   in Loop: Header=BB6_452 Depth=1
	s_or_b64 exec, exec, s[18:19]
	global_load_dwordx2 v[2:3], v28, s[6:7] offset:16
	s_mov_b64 s[20:21], exec
	v_mbcnt_lo_u32_b32 v4, s20, 0
	v_mbcnt_hi_u32_b32 v4, s21, v4
	v_cmp_eq_u32_e32 vcc, 0, v4
	s_and_saveexec_b64 s[18:19], vcc
	s_cbranch_execz .LBB6_522
; %bb.521:                              ;   in Loop: Header=BB6_452 Depth=1
	s_bcnt1_i32_b64 s20, s[20:21]
	v_mov_b32_e32 v27, s20
	s_waitcnt vmcnt(0)
	global_atomic_add_x2 v[2:3], v[27:28], off offset:8
.LBB6_522:                              ;   in Loop: Header=BB6_452 Depth=1
	s_or_b64 exec, exec, s[18:19]
	s_waitcnt vmcnt(0)
	global_load_dwordx2 v[4:5], v[2:3], off offset:16
	s_waitcnt vmcnt(0)
	v_cmp_eq_u64_e32 vcc, 0, v[4:5]
	s_cbranch_vccnz .LBB6_524
; %bb.523:                              ;   in Loop: Header=BB6_452 Depth=1
	global_load_dword v27, v[2:3], off offset:24
	s_waitcnt vmcnt(0)
	v_readfirstlane_b32 s18, v27
	s_and_b32 m0, s18, 0xffffff
	global_store_dwordx2 v[4:5], v[27:28], off
	s_sendmsg sendmsg(MSG_INTERRUPT)
.LBB6_524:                              ;   in Loop: Header=BB6_452 Depth=1
	s_or_b64 exec, exec, s[16:17]
	v_add_co_u32_e32 v2, vcc, v24, v32
	v_addc_co_u32_e32 v3, vcc, 0, v25, vcc
	s_branch .LBB6_528
.LBB6_525:                              ;   in Loop: Header=BB6_528 Depth=2
	s_or_b64 exec, exec, s[16:17]
	v_readfirstlane_b32 s16, v4
	s_cmp_eq_u32 s16, 0
	s_cbranch_scc1 .LBB6_527
; %bb.526:                              ;   in Loop: Header=BB6_528 Depth=2
	s_sleep 1
	s_cbranch_execnz .LBB6_528
	s_branch .LBB6_530
.LBB6_527:                              ;   in Loop: Header=BB6_452 Depth=1
	s_branch .LBB6_530
.LBB6_528:                              ;   Parent Loop BB6_452 Depth=1
                                        ; =>  This Inner Loop Header: Depth=2
	v_mov_b32_e32 v4, 1
	s_and_saveexec_b64 s[16:17], s[2:3]
	s_cbranch_execz .LBB6_525
; %bb.529:                              ;   in Loop: Header=BB6_528 Depth=2
	global_load_dword v4, v[29:30], off offset:20 glc
	s_waitcnt vmcnt(0)
	buffer_wbinvl1_vol
	v_and_b32_e32 v4, 1, v4
	s_branch .LBB6_525
.LBB6_530:                              ;   in Loop: Header=BB6_452 Depth=1
	global_load_dwordx2 v[2:3], v[2:3], off
	s_and_saveexec_b64 s[16:17], s[2:3]
	s_cbranch_execz .LBB6_451
; %bb.531:                              ;   in Loop: Header=BB6_452 Depth=1
	global_load_dwordx2 v[4:5], v28, s[6:7] offset:40
	global_load_dwordx2 v[14:15], v28, s[6:7] offset:24 glc
	global_load_dwordx2 v[6:7], v28, s[6:7]
	s_waitcnt vmcnt(2)
	v_readfirstlane_b32 s18, v4
	v_readfirstlane_b32 s19, v5
	s_add_u32 s20, s18, 1
	s_addc_u32 s21, s19, 0
	s_add_u32 s2, s20, s14
	s_addc_u32 s3, s21, s15
	s_cmp_eq_u64 s[2:3], 0
	s_cselect_b32 s3, s21, s3
	s_cselect_b32 s2, s20, s2
	s_and_b64 s[14:15], s[2:3], s[18:19]
	s_mul_i32 s15, s15, 24
	s_mul_hi_u32 s18, s14, 24
	s_mul_i32 s14, s14, 24
	s_add_i32 s15, s18, s15
	v_mov_b32_e32 v4, s15
	s_waitcnt vmcnt(0)
	v_add_co_u32_e32 v10, vcc, s14, v6
	v_addc_co_u32_e32 v11, vcc, v7, v4, vcc
	v_mov_b32_e32 v12, s2
	global_store_dwordx2 v[10:11], v[14:15], off
	v_mov_b32_e32 v13, s3
	s_waitcnt vmcnt(0)
	global_atomic_cmpswap_x2 v[6:7], v28, v[12:15], s[6:7] offset:24 glc
	s_waitcnt vmcnt(0)
	v_cmp_ne_u64_e32 vcc, v[6:7], v[14:15]
	s_and_b64 exec, exec, vcc
	s_cbranch_execz .LBB6_451
; %bb.532:                              ;   in Loop: Header=BB6_452 Depth=1
	s_mov_b64 s[14:15], 0
.LBB6_533:                              ;   Parent Loop BB6_452 Depth=1
                                        ; =>  This Inner Loop Header: Depth=2
	s_sleep 1
	global_store_dwordx2 v[10:11], v[6:7], off
	v_mov_b32_e32 v4, s2
	v_mov_b32_e32 v5, s3
	s_waitcnt vmcnt(0)
	global_atomic_cmpswap_x2 v[4:5], v28, v[4:7], s[6:7] offset:24 glc
	s_waitcnt vmcnt(0)
	v_cmp_eq_u64_e32 vcc, v[4:5], v[6:7]
	v_mov_b32_e32 v7, v5
	s_or_b64 s[14:15], vcc, s[14:15]
	v_mov_b32_e32 v6, v4
	s_andn2_b64 exec, exec, s[14:15]
	s_cbranch_execnz .LBB6_533
	s_branch .LBB6_451
.LBB6_534:
	s_branch .LBB6_562
.LBB6_535:
                                        ; implicit-def: $vgpr2_vgpr3
	s_cbranch_execz .LBB6_562
; %bb.536:
	v_readfirstlane_b32 s2, v33
	v_mov_b32_e32 v8, 0
	v_mov_b32_e32 v9, 0
	v_cmp_eq_u32_e64 s[2:3], s2, v33
	s_and_saveexec_b64 s[8:9], s[2:3]
	s_cbranch_execz .LBB6_542
; %bb.537:
	s_waitcnt vmcnt(0)
	v_mov_b32_e32 v2, 0
	global_load_dwordx2 v[5:6], v2, s[6:7] offset:24 glc
	s_waitcnt vmcnt(0)
	buffer_wbinvl1_vol
	global_load_dwordx2 v[3:4], v2, s[6:7] offset:40
	global_load_dwordx2 v[7:8], v2, s[6:7]
	s_waitcnt vmcnt(1)
	v_and_b32_e32 v3, v3, v5
	v_and_b32_e32 v4, v4, v6
	v_mul_lo_u32 v4, v4, 24
	v_mul_hi_u32 v9, v3, 24
	v_mul_lo_u32 v3, v3, 24
	v_add_u32_e32 v4, v9, v4
	s_waitcnt vmcnt(0)
	v_add_co_u32_e32 v3, vcc, v7, v3
	v_addc_co_u32_e32 v4, vcc, v8, v4, vcc
	global_load_dwordx2 v[3:4], v[3:4], off glc
	s_waitcnt vmcnt(0)
	global_atomic_cmpswap_x2 v[8:9], v2, v[3:6], s[6:7] offset:24 glc
	s_waitcnt vmcnt(0)
	buffer_wbinvl1_vol
	v_cmp_ne_u64_e32 vcc, v[8:9], v[5:6]
	s_and_saveexec_b64 s[10:11], vcc
	s_cbranch_execz .LBB6_541
; %bb.538:
	s_mov_b64 s[12:13], 0
.LBB6_539:                              ; =>This Inner Loop Header: Depth=1
	s_sleep 1
	global_load_dwordx2 v[3:4], v2, s[6:7] offset:40
	global_load_dwordx2 v[10:11], v2, s[6:7]
	v_mov_b32_e32 v5, v8
	v_mov_b32_e32 v6, v9
	s_waitcnt vmcnt(1)
	v_and_b32_e32 v3, v3, v5
	s_waitcnt vmcnt(0)
	v_mad_u64_u32 v[7:8], s[14:15], v3, 24, v[10:11]
	v_and_b32_e32 v4, v4, v6
	v_mov_b32_e32 v3, v8
	v_mad_u64_u32 v[3:4], s[14:15], v4, 24, v[3:4]
	v_mov_b32_e32 v8, v3
	global_load_dwordx2 v[3:4], v[7:8], off glc
	s_waitcnt vmcnt(0)
	global_atomic_cmpswap_x2 v[8:9], v2, v[3:6], s[6:7] offset:24 glc
	s_waitcnt vmcnt(0)
	buffer_wbinvl1_vol
	v_cmp_eq_u64_e32 vcc, v[8:9], v[5:6]
	s_or_b64 s[12:13], vcc, s[12:13]
	s_andn2_b64 exec, exec, s[12:13]
	s_cbranch_execnz .LBB6_539
; %bb.540:
	s_or_b64 exec, exec, s[12:13]
.LBB6_541:
	s_or_b64 exec, exec, s[10:11]
.LBB6_542:
	s_or_b64 exec, exec, s[8:9]
	s_waitcnt vmcnt(0)
	v_mov_b32_e32 v2, 0
	global_load_dwordx2 v[10:11], v2, s[6:7] offset:40
	global_load_dwordx4 v[4:7], v2, s[6:7]
	v_readfirstlane_b32 s9, v9
	v_readfirstlane_b32 s8, v8
	s_mov_b64 s[10:11], exec
	s_waitcnt vmcnt(1)
	v_readfirstlane_b32 s12, v10
	v_readfirstlane_b32 s13, v11
	s_and_b64 s[12:13], s[12:13], s[8:9]
	s_mul_i32 s14, s13, 24
	s_mul_hi_u32 s15, s12, 24
	s_mul_i32 s16, s12, 24
	s_add_i32 s14, s15, s14
	v_mov_b32_e32 v3, s14
	s_waitcnt vmcnt(0)
	v_add_co_u32_e32 v8, vcc, s16, v4
	v_addc_co_u32_e32 v9, vcc, v5, v3, vcc
	s_and_saveexec_b64 s[14:15], s[2:3]
	s_cbranch_execz .LBB6_544
; %bb.543:
	v_mov_b32_e32 v10, s10
	v_mov_b32_e32 v11, s11
	;; [unrolled: 1-line block ×4, first 2 shown]
	global_store_dwordx4 v[8:9], v[10:13], off offset:8
.LBB6_544:
	s_or_b64 exec, exec, s[14:15]
	s_lshl_b64 s[10:11], s[12:13], 12
	v_mov_b32_e32 v3, s11
	v_add_co_u32_e32 v10, vcc, s10, v6
	v_addc_co_u32_e32 v11, vcc, v7, v3, vcc
	s_movk_i32 s10, 0xff1f
	v_and_or_b32 v0, v0, s10, 32
	s_mov_b32 s12, 0
	v_mov_b32_e32 v3, v2
	v_readfirstlane_b32 s10, v10
	v_readfirstlane_b32 s11, v11
	v_add_co_u32_e32 v6, vcc, v10, v32
	s_mov_b32 s13, s12
	s_mov_b32 s14, s12
	s_mov_b32 s15, s12
	s_nop 0
	global_store_dwordx4 v32, v[0:3], s[10:11]
	v_addc_co_u32_e32 v7, vcc, 0, v11, vcc
	v_mov_b32_e32 v0, s12
	v_mov_b32_e32 v1, s13
	;; [unrolled: 1-line block ×4, first 2 shown]
	global_store_dwordx4 v32, v[0:3], s[10:11] offset:16
	global_store_dwordx4 v32, v[0:3], s[10:11] offset:32
	;; [unrolled: 1-line block ×3, first 2 shown]
	s_and_saveexec_b64 s[10:11], s[2:3]
	s_cbranch_execz .LBB6_552
; %bb.545:
	v_mov_b32_e32 v10, 0
	global_load_dwordx2 v[13:14], v10, s[6:7] offset:32 glc
	global_load_dwordx2 v[0:1], v10, s[6:7] offset:40
	v_mov_b32_e32 v11, s8
	v_mov_b32_e32 v12, s9
	s_waitcnt vmcnt(0)
	v_readfirstlane_b32 s12, v0
	v_readfirstlane_b32 s13, v1
	s_and_b64 s[12:13], s[12:13], s[8:9]
	s_mul_i32 s13, s13, 24
	s_mul_hi_u32 s14, s12, 24
	s_mul_i32 s12, s12, 24
	s_add_i32 s13, s14, s13
	v_mov_b32_e32 v0, s13
	v_add_co_u32_e32 v4, vcc, s12, v4
	v_addc_co_u32_e32 v5, vcc, v5, v0, vcc
	global_store_dwordx2 v[4:5], v[13:14], off
	s_waitcnt vmcnt(0)
	global_atomic_cmpswap_x2 v[2:3], v10, v[11:14], s[6:7] offset:32 glc
	s_waitcnt vmcnt(0)
	v_cmp_ne_u64_e32 vcc, v[2:3], v[13:14]
	s_and_saveexec_b64 s[12:13], vcc
	s_cbranch_execz .LBB6_548
; %bb.546:
	s_mov_b64 s[14:15], 0
.LBB6_547:                              ; =>This Inner Loop Header: Depth=1
	s_sleep 1
	global_store_dwordx2 v[4:5], v[2:3], off
	v_mov_b32_e32 v0, s8
	v_mov_b32_e32 v1, s9
	s_waitcnt vmcnt(0)
	global_atomic_cmpswap_x2 v[0:1], v10, v[0:3], s[6:7] offset:32 glc
	s_waitcnt vmcnt(0)
	v_cmp_eq_u64_e32 vcc, v[0:1], v[2:3]
	v_mov_b32_e32 v3, v1
	s_or_b64 s[14:15], vcc, s[14:15]
	v_mov_b32_e32 v2, v0
	s_andn2_b64 exec, exec, s[14:15]
	s_cbranch_execnz .LBB6_547
.LBB6_548:
	s_or_b64 exec, exec, s[12:13]
	v_mov_b32_e32 v3, 0
	global_load_dwordx2 v[0:1], v3, s[6:7] offset:16
	s_mov_b64 s[12:13], exec
	v_mbcnt_lo_u32_b32 v2, s12, 0
	v_mbcnt_hi_u32_b32 v2, s13, v2
	v_cmp_eq_u32_e32 vcc, 0, v2
	s_and_saveexec_b64 s[14:15], vcc
	s_cbranch_execz .LBB6_550
; %bb.549:
	s_bcnt1_i32_b64 s12, s[12:13]
	v_mov_b32_e32 v2, s12
	s_waitcnt vmcnt(0)
	global_atomic_add_x2 v[0:1], v[2:3], off offset:8
.LBB6_550:
	s_or_b64 exec, exec, s[14:15]
	s_waitcnt vmcnt(0)
	global_load_dwordx2 v[2:3], v[0:1], off offset:16
	s_waitcnt vmcnt(0)
	v_cmp_eq_u64_e32 vcc, 0, v[2:3]
	s_cbranch_vccnz .LBB6_552
; %bb.551:
	global_load_dword v0, v[0:1], off offset:24
	v_mov_b32_e32 v1, 0
	s_waitcnt vmcnt(0)
	v_readfirstlane_b32 s12, v0
	s_and_b32 m0, s12, 0xffffff
	global_store_dwordx2 v[2:3], v[0:1], off
	s_sendmsg sendmsg(MSG_INTERRUPT)
.LBB6_552:
	s_or_b64 exec, exec, s[10:11]
	s_branch .LBB6_556
.LBB6_553:                              ;   in Loop: Header=BB6_556 Depth=1
	s_or_b64 exec, exec, s[10:11]
	v_readfirstlane_b32 s10, v0
	s_cmp_eq_u32 s10, 0
	s_cbranch_scc1 .LBB6_555
; %bb.554:                              ;   in Loop: Header=BB6_556 Depth=1
	s_sleep 1
	s_cbranch_execnz .LBB6_556
	s_branch .LBB6_558
.LBB6_555:
	s_branch .LBB6_558
.LBB6_556:                              ; =>This Inner Loop Header: Depth=1
	v_mov_b32_e32 v0, 1
	s_and_saveexec_b64 s[10:11], s[2:3]
	s_cbranch_execz .LBB6_553
; %bb.557:                              ;   in Loop: Header=BB6_556 Depth=1
	global_load_dword v0, v[8:9], off offset:20 glc
	s_waitcnt vmcnt(0)
	buffer_wbinvl1_vol
	v_and_b32_e32 v0, 1, v0
	s_branch .LBB6_553
.LBB6_558:
	global_load_dwordx2 v[2:3], v[6:7], off
	s_and_saveexec_b64 s[10:11], s[2:3]
	s_cbranch_execz .LBB6_561
; %bb.559:
	v_mov_b32_e32 v8, 0
	global_load_dwordx2 v[0:1], v8, s[6:7] offset:40
	global_load_dwordx2 v[11:12], v8, s[6:7] offset:24 glc
	global_load_dwordx2 v[4:5], v8, s[6:7]
	s_waitcnt vmcnt(2)
	v_readfirstlane_b32 s12, v0
	v_readfirstlane_b32 s13, v1
	s_add_u32 s14, s12, 1
	s_addc_u32 s15, s13, 0
	s_add_u32 s2, s14, s8
	s_addc_u32 s3, s15, s9
	s_cmp_eq_u64 s[2:3], 0
	s_cselect_b32 s3, s15, s3
	s_cselect_b32 s2, s14, s2
	s_and_b64 s[8:9], s[2:3], s[12:13]
	s_mul_i32 s9, s9, 24
	s_mul_hi_u32 s12, s8, 24
	s_mul_i32 s8, s8, 24
	s_add_i32 s9, s12, s9
	v_mov_b32_e32 v1, s9
	s_waitcnt vmcnt(0)
	v_add_co_u32_e32 v0, vcc, s8, v4
	v_addc_co_u32_e32 v1, vcc, v5, v1, vcc
	v_mov_b32_e32 v9, s2
	global_store_dwordx2 v[0:1], v[11:12], off
	v_mov_b32_e32 v10, s3
	s_waitcnt vmcnt(0)
	global_atomic_cmpswap_x2 v[6:7], v8, v[9:12], s[6:7] offset:24 glc
	s_mov_b64 s[8:9], 0
	s_waitcnt vmcnt(0)
	v_cmp_ne_u64_e32 vcc, v[6:7], v[11:12]
	s_and_b64 exec, exec, vcc
	s_cbranch_execz .LBB6_561
.LBB6_560:                              ; =>This Inner Loop Header: Depth=1
	s_sleep 1
	global_store_dwordx2 v[0:1], v[6:7], off
	v_mov_b32_e32 v4, s2
	v_mov_b32_e32 v5, s3
	s_waitcnt vmcnt(0)
	global_atomic_cmpswap_x2 v[4:5], v8, v[4:7], s[6:7] offset:24 glc
	s_waitcnt vmcnt(0)
	v_cmp_eq_u64_e32 vcc, v[4:5], v[6:7]
	v_mov_b32_e32 v7, v5
	s_or_b64 s[8:9], vcc, s[8:9]
	v_mov_b32_e32 v6, v4
	s_andn2_b64 exec, exec, s[8:9]
	s_cbranch_execnz .LBB6_560
.LBB6_561:
	s_or_b64 exec, exec, s[10:11]
.LBB6_562:
	v_readfirstlane_b32 s2, v33
	s_waitcnt vmcnt(0)
	v_mov_b32_e32 v0, 0
	v_mov_b32_e32 v1, 0
	v_cmp_eq_u32_e64 s[2:3], s2, v33
	s_and_saveexec_b64 s[8:9], s[2:3]
	s_cbranch_execz .LBB6_568
; %bb.563:
	v_mov_b32_e32 v4, 0
	global_load_dwordx2 v[7:8], v4, s[6:7] offset:24 glc
	s_waitcnt vmcnt(0)
	buffer_wbinvl1_vol
	global_load_dwordx2 v[0:1], v4, s[6:7] offset:40
	global_load_dwordx2 v[5:6], v4, s[6:7]
	s_waitcnt vmcnt(1)
	v_and_b32_e32 v0, v0, v7
	v_and_b32_e32 v1, v1, v8
	v_mul_lo_u32 v1, v1, 24
	v_mul_hi_u32 v9, v0, 24
	v_mul_lo_u32 v0, v0, 24
	v_add_u32_e32 v1, v9, v1
	s_waitcnt vmcnt(0)
	v_add_co_u32_e32 v0, vcc, v5, v0
	v_addc_co_u32_e32 v1, vcc, v6, v1, vcc
	global_load_dwordx2 v[5:6], v[0:1], off glc
	s_waitcnt vmcnt(0)
	global_atomic_cmpswap_x2 v[0:1], v4, v[5:8], s[6:7] offset:24 glc
	s_waitcnt vmcnt(0)
	buffer_wbinvl1_vol
	v_cmp_ne_u64_e32 vcc, v[0:1], v[7:8]
	s_and_saveexec_b64 s[10:11], vcc
	s_cbranch_execz .LBB6_567
; %bb.564:
	s_mov_b64 s[12:13], 0
.LBB6_565:                              ; =>This Inner Loop Header: Depth=1
	s_sleep 1
	global_load_dwordx2 v[5:6], v4, s[6:7] offset:40
	global_load_dwordx2 v[9:10], v4, s[6:7]
	v_mov_b32_e32 v8, v1
	v_mov_b32_e32 v7, v0
	s_waitcnt vmcnt(1)
	v_and_b32_e32 v0, v5, v7
	s_waitcnt vmcnt(0)
	v_mad_u64_u32 v[0:1], s[14:15], v0, 24, v[9:10]
	v_and_b32_e32 v5, v6, v8
	v_mad_u64_u32 v[5:6], s[14:15], v5, 24, v[1:2]
	v_mov_b32_e32 v1, v5
	global_load_dwordx2 v[5:6], v[0:1], off glc
	s_waitcnt vmcnt(0)
	global_atomic_cmpswap_x2 v[0:1], v4, v[5:8], s[6:7] offset:24 glc
	s_waitcnt vmcnt(0)
	buffer_wbinvl1_vol
	v_cmp_eq_u64_e32 vcc, v[0:1], v[7:8]
	s_or_b64 s[12:13], vcc, s[12:13]
	s_andn2_b64 exec, exec, s[12:13]
	s_cbranch_execnz .LBB6_565
; %bb.566:
	s_or_b64 exec, exec, s[12:13]
.LBB6_567:
	s_or_b64 exec, exec, s[10:11]
.LBB6_568:
	s_or_b64 exec, exec, s[8:9]
	v_mov_b32_e32 v5, 0
	global_load_dwordx2 v[10:11], v5, s[6:7] offset:40
	global_load_dwordx4 v[6:9], v5, s[6:7]
	v_readfirstlane_b32 s9, v1
	v_readfirstlane_b32 s8, v0
	s_mov_b64 s[10:11], exec
	s_waitcnt vmcnt(1)
	v_readfirstlane_b32 s12, v10
	v_readfirstlane_b32 s13, v11
	s_and_b64 s[12:13], s[12:13], s[8:9]
	s_mul_i32 s14, s13, 24
	s_mul_hi_u32 s15, s12, 24
	s_mul_i32 s16, s12, 24
	s_add_i32 s14, s15, s14
	v_mov_b32_e32 v0, s14
	s_waitcnt vmcnt(0)
	v_add_co_u32_e32 v10, vcc, s16, v6
	v_addc_co_u32_e32 v11, vcc, v7, v0, vcc
	s_and_saveexec_b64 s[14:15], s[2:3]
	s_cbranch_execz .LBB6_570
; %bb.569:
	v_mov_b32_e32 v13, s11
	v_mov_b32_e32 v12, s10
	;; [unrolled: 1-line block ×4, first 2 shown]
	global_store_dwordx4 v[10:11], v[12:15], off offset:8
.LBB6_570:
	s_or_b64 exec, exec, s[14:15]
	s_lshl_b64 s[10:11], s[12:13], 12
	v_mov_b32_e32 v0, s11
	v_add_co_u32_e32 v1, vcc, s10, v8
	v_addc_co_u32_e32 v0, vcc, v9, v0, vcc
	s_movk_i32 s10, 0xff1f
	v_and_or_b32 v2, v2, s10, 32
	v_add_co_u32_e32 v8, vcc, v1, v32
	s_mov_b32 s12, 0
	v_mov_b32_e32 v4, 31
	v_readfirstlane_b32 s10, v1
	v_readfirstlane_b32 s11, v0
	v_addc_co_u32_e32 v9, vcc, 0, v0, vcc
	s_mov_b32 s13, s12
	s_mov_b32 s14, s12
	;; [unrolled: 1-line block ×3, first 2 shown]
	s_nop 0
	global_store_dwordx4 v32, v[2:5], s[10:11]
	v_mov_b32_e32 v0, s12
	v_mov_b32_e32 v1, s13
	;; [unrolled: 1-line block ×4, first 2 shown]
	global_store_dwordx4 v32, v[0:3], s[10:11] offset:16
	global_store_dwordx4 v32, v[0:3], s[10:11] offset:32
	;; [unrolled: 1-line block ×3, first 2 shown]
	s_and_saveexec_b64 s[10:11], s[2:3]
	s_cbranch_execz .LBB6_578
; %bb.571:
	v_mov_b32_e32 v12, 0
	global_load_dwordx2 v[15:16], v12, s[6:7] offset:32 glc
	global_load_dwordx2 v[0:1], v12, s[6:7] offset:40
	v_mov_b32_e32 v13, s8
	v_mov_b32_e32 v14, s9
	s_waitcnt vmcnt(0)
	v_readfirstlane_b32 s12, v0
	v_readfirstlane_b32 s13, v1
	s_and_b64 s[12:13], s[12:13], s[8:9]
	s_mul_i32 s13, s13, 24
	s_mul_hi_u32 s14, s12, 24
	s_mul_i32 s12, s12, 24
	s_add_i32 s13, s14, s13
	v_mov_b32_e32 v0, s13
	v_add_co_u32_e32 v4, vcc, s12, v6
	v_addc_co_u32_e32 v5, vcc, v7, v0, vcc
	global_store_dwordx2 v[4:5], v[15:16], off
	s_waitcnt vmcnt(0)
	global_atomic_cmpswap_x2 v[2:3], v12, v[13:16], s[6:7] offset:32 glc
	s_waitcnt vmcnt(0)
	v_cmp_ne_u64_e32 vcc, v[2:3], v[15:16]
	s_and_saveexec_b64 s[12:13], vcc
	s_cbranch_execz .LBB6_574
; %bb.572:
	s_mov_b64 s[14:15], 0
.LBB6_573:                              ; =>This Inner Loop Header: Depth=1
	s_sleep 1
	global_store_dwordx2 v[4:5], v[2:3], off
	v_mov_b32_e32 v0, s8
	v_mov_b32_e32 v1, s9
	s_waitcnt vmcnt(0)
	global_atomic_cmpswap_x2 v[0:1], v12, v[0:3], s[6:7] offset:32 glc
	s_waitcnt vmcnt(0)
	v_cmp_eq_u64_e32 vcc, v[0:1], v[2:3]
	v_mov_b32_e32 v3, v1
	s_or_b64 s[14:15], vcc, s[14:15]
	v_mov_b32_e32 v2, v0
	s_andn2_b64 exec, exec, s[14:15]
	s_cbranch_execnz .LBB6_573
.LBB6_574:
	s_or_b64 exec, exec, s[12:13]
	v_mov_b32_e32 v3, 0
	global_load_dwordx2 v[0:1], v3, s[6:7] offset:16
	s_mov_b64 s[12:13], exec
	v_mbcnt_lo_u32_b32 v2, s12, 0
	v_mbcnt_hi_u32_b32 v2, s13, v2
	v_cmp_eq_u32_e32 vcc, 0, v2
	s_and_saveexec_b64 s[14:15], vcc
	s_cbranch_execz .LBB6_576
; %bb.575:
	s_bcnt1_i32_b64 s12, s[12:13]
	v_mov_b32_e32 v2, s12
	s_waitcnt vmcnt(0)
	global_atomic_add_x2 v[0:1], v[2:3], off offset:8
.LBB6_576:
	s_or_b64 exec, exec, s[14:15]
	s_waitcnt vmcnt(0)
	global_load_dwordx2 v[2:3], v[0:1], off offset:16
	s_waitcnt vmcnt(0)
	v_cmp_eq_u64_e32 vcc, 0, v[2:3]
	s_cbranch_vccnz .LBB6_578
; %bb.577:
	global_load_dword v0, v[0:1], off offset:24
	v_mov_b32_e32 v1, 0
	s_waitcnt vmcnt(0)
	v_readfirstlane_b32 s12, v0
	s_and_b32 m0, s12, 0xffffff
	global_store_dwordx2 v[2:3], v[0:1], off
	s_sendmsg sendmsg(MSG_INTERRUPT)
.LBB6_578:
	s_or_b64 exec, exec, s[10:11]
	s_branch .LBB6_582
.LBB6_579:                              ;   in Loop: Header=BB6_582 Depth=1
	s_or_b64 exec, exec, s[10:11]
	v_readfirstlane_b32 s10, v0
	s_cmp_eq_u32 s10, 0
	s_cbranch_scc1 .LBB6_581
; %bb.580:                              ;   in Loop: Header=BB6_582 Depth=1
	s_sleep 1
	s_cbranch_execnz .LBB6_582
	s_branch .LBB6_584
.LBB6_581:
	s_branch .LBB6_584
.LBB6_582:                              ; =>This Inner Loop Header: Depth=1
	v_mov_b32_e32 v0, 1
	s_and_saveexec_b64 s[10:11], s[2:3]
	s_cbranch_execz .LBB6_579
; %bb.583:                              ;   in Loop: Header=BB6_582 Depth=1
	global_load_dword v0, v[10:11], off offset:20 glc
	s_waitcnt vmcnt(0)
	buffer_wbinvl1_vol
	v_and_b32_e32 v0, 1, v0
	s_branch .LBB6_579
.LBB6_584:
	global_load_dwordx2 v[0:1], v[8:9], off
	s_and_saveexec_b64 s[10:11], s[2:3]
	s_cbranch_execz .LBB6_587
; %bb.585:
	v_mov_b32_e32 v8, 0
	global_load_dwordx2 v[2:3], v8, s[6:7] offset:40
	global_load_dwordx2 v[11:12], v8, s[6:7] offset:24 glc
	global_load_dwordx2 v[4:5], v8, s[6:7]
	s_waitcnt vmcnt(2)
	v_readfirstlane_b32 s12, v2
	v_readfirstlane_b32 s13, v3
	s_add_u32 s14, s12, 1
	s_addc_u32 s15, s13, 0
	s_add_u32 s2, s14, s8
	s_addc_u32 s3, s15, s9
	s_cmp_eq_u64 s[2:3], 0
	s_cselect_b32 s3, s15, s3
	s_cselect_b32 s2, s14, s2
	s_and_b64 s[8:9], s[2:3], s[12:13]
	s_mul_i32 s9, s9, 24
	s_mul_hi_u32 s12, s8, 24
	s_mul_i32 s8, s8, 24
	s_add_i32 s9, s12, s9
	v_mov_b32_e32 v2, s9
	s_waitcnt vmcnt(0)
	v_add_co_u32_e32 v6, vcc, s8, v4
	v_addc_co_u32_e32 v7, vcc, v5, v2, vcc
	v_mov_b32_e32 v9, s2
	global_store_dwordx2 v[6:7], v[11:12], off
	v_mov_b32_e32 v10, s3
	s_waitcnt vmcnt(0)
	global_atomic_cmpswap_x2 v[4:5], v8, v[9:12], s[6:7] offset:24 glc
	s_mov_b64 s[8:9], 0
	s_waitcnt vmcnt(0)
	v_cmp_ne_u64_e32 vcc, v[4:5], v[11:12]
	s_and_b64 exec, exec, vcc
	s_cbranch_execz .LBB6_587
.LBB6_586:                              ; =>This Inner Loop Header: Depth=1
	s_sleep 1
	global_store_dwordx2 v[6:7], v[4:5], off
	v_mov_b32_e32 v2, s2
	v_mov_b32_e32 v3, s3
	s_waitcnt vmcnt(0)
	global_atomic_cmpswap_x2 v[2:3], v8, v[2:5], s[6:7] offset:24 glc
	s_waitcnt vmcnt(0)
	v_cmp_eq_u64_e32 vcc, v[2:3], v[4:5]
	v_mov_b32_e32 v5, v3
	s_or_b64 s[8:9], vcc, s[8:9]
	v_mov_b32_e32 v4, v2
	s_andn2_b64 exec, exec, s[8:9]
	s_cbranch_execnz .LBB6_586
.LBB6_587:
	s_or_b64 exec, exec, s[10:11]
	v_readfirstlane_b32 s2, v33
	v_mov_b32_e32 v8, 0
	v_mov_b32_e32 v9, 0
	v_cmp_eq_u32_e64 s[2:3], s2, v33
	s_and_saveexec_b64 s[8:9], s[2:3]
	s_cbranch_execz .LBB6_593
; %bb.588:
	v_mov_b32_e32 v2, 0
	global_load_dwordx2 v[5:6], v2, s[6:7] offset:24 glc
	s_waitcnt vmcnt(0)
	buffer_wbinvl1_vol
	global_load_dwordx2 v[3:4], v2, s[6:7] offset:40
	global_load_dwordx2 v[7:8], v2, s[6:7]
	s_waitcnt vmcnt(1)
	v_and_b32_e32 v3, v3, v5
	v_and_b32_e32 v4, v4, v6
	v_mul_lo_u32 v4, v4, 24
	v_mul_hi_u32 v9, v3, 24
	v_mul_lo_u32 v3, v3, 24
	v_add_u32_e32 v4, v9, v4
	s_waitcnt vmcnt(0)
	v_add_co_u32_e32 v3, vcc, v7, v3
	v_addc_co_u32_e32 v4, vcc, v8, v4, vcc
	global_load_dwordx2 v[3:4], v[3:4], off glc
	s_waitcnt vmcnt(0)
	global_atomic_cmpswap_x2 v[8:9], v2, v[3:6], s[6:7] offset:24 glc
	s_waitcnt vmcnt(0)
	buffer_wbinvl1_vol
	v_cmp_ne_u64_e32 vcc, v[8:9], v[5:6]
	s_and_saveexec_b64 s[10:11], vcc
	s_cbranch_execz .LBB6_592
; %bb.589:
	s_mov_b64 s[12:13], 0
.LBB6_590:                              ; =>This Inner Loop Header: Depth=1
	s_sleep 1
	global_load_dwordx2 v[3:4], v2, s[6:7] offset:40
	global_load_dwordx2 v[10:11], v2, s[6:7]
	v_mov_b32_e32 v5, v8
	v_mov_b32_e32 v6, v9
	s_waitcnt vmcnt(1)
	v_and_b32_e32 v3, v3, v5
	s_waitcnt vmcnt(0)
	v_mad_u64_u32 v[7:8], s[14:15], v3, 24, v[10:11]
	v_and_b32_e32 v4, v4, v6
	v_mov_b32_e32 v3, v8
	v_mad_u64_u32 v[3:4], s[14:15], v4, 24, v[3:4]
	v_mov_b32_e32 v8, v3
	global_load_dwordx2 v[3:4], v[7:8], off glc
	s_waitcnt vmcnt(0)
	global_atomic_cmpswap_x2 v[8:9], v2, v[3:6], s[6:7] offset:24 glc
	s_waitcnt vmcnt(0)
	buffer_wbinvl1_vol
	v_cmp_eq_u64_e32 vcc, v[8:9], v[5:6]
	s_or_b64 s[12:13], vcc, s[12:13]
	s_andn2_b64 exec, exec, s[12:13]
	s_cbranch_execnz .LBB6_590
; %bb.591:
	s_or_b64 exec, exec, s[12:13]
.LBB6_592:
	s_or_b64 exec, exec, s[10:11]
.LBB6_593:
	s_or_b64 exec, exec, s[8:9]
	v_mov_b32_e32 v3, 0
	global_load_dwordx2 v[10:11], v3, s[6:7] offset:40
	global_load_dwordx4 v[4:7], v3, s[6:7]
	v_readfirstlane_b32 s9, v9
	v_readfirstlane_b32 s8, v8
	s_mov_b64 s[10:11], exec
	s_waitcnt vmcnt(1)
	v_readfirstlane_b32 s12, v10
	v_readfirstlane_b32 s13, v11
	s_and_b64 s[12:13], s[12:13], s[8:9]
	s_mul_i32 s14, s13, 24
	s_mul_hi_u32 s15, s12, 24
	s_mul_i32 s16, s12, 24
	s_add_i32 s14, s15, s14
	v_mov_b32_e32 v2, s14
	s_waitcnt vmcnt(0)
	v_add_co_u32_e32 v8, vcc, s16, v4
	v_addc_co_u32_e32 v9, vcc, v5, v2, vcc
	s_and_saveexec_b64 s[14:15], s[2:3]
	s_cbranch_execz .LBB6_595
; %bb.594:
	v_mov_b32_e32 v10, s10
	v_mov_b32_e32 v11, s11
	;; [unrolled: 1-line block ×4, first 2 shown]
	global_store_dwordx4 v[8:9], v[10:13], off offset:8
.LBB6_595:
	s_or_b64 exec, exec, s[14:15]
	s_lshl_b64 s[10:11], s[12:13], 12
	v_mov_b32_e32 v2, s11
	v_add_co_u32_e32 v6, vcc, s10, v6
	v_addc_co_u32_e32 v7, vcc, v7, v2, vcc
	s_mov_b32 s12, 0
	v_cndmask_b32_e64 v2, -1, v31, s[0:1]
	s_movk_i32 s0, 0xff1f
	v_add_co_u32_e32 v10, vcc, v6, v32
	s_mov_b32 s13, s12
	s_mov_b32 s14, s12
	;; [unrolled: 1-line block ×3, first 2 shown]
	v_mov_b32_e32 v12, s12
	v_and_or_b32 v0, v0, s0, 32
	v_addc_co_u32_e32 v11, vcc, 0, v7, vcc
	v_readfirstlane_b32 s0, v6
	v_readfirstlane_b32 s1, v7
	v_mov_b32_e32 v13, s13
	v_mov_b32_e32 v14, s14
	;; [unrolled: 1-line block ×3, first 2 shown]
	s_nop 1
	global_store_dwordx4 v32, v[0:3], s[0:1]
	global_store_dwordx4 v32, v[12:15], s[0:1] offset:16
	global_store_dwordx4 v32, v[12:15], s[0:1] offset:32
	global_store_dwordx4 v32, v[12:15], s[0:1] offset:48
	s_and_saveexec_b64 s[0:1], s[2:3]
	s_cbranch_execz .LBB6_603
; %bb.596:
	v_mov_b32_e32 v7, 0
	global_load_dwordx2 v[14:15], v7, s[6:7] offset:32 glc
	global_load_dwordx2 v[0:1], v7, s[6:7] offset:40
	v_mov_b32_e32 v12, s8
	v_mov_b32_e32 v13, s9
	s_waitcnt vmcnt(0)
	v_readfirstlane_b32 s10, v0
	v_readfirstlane_b32 s11, v1
	s_and_b64 s[10:11], s[10:11], s[8:9]
	s_mul_i32 s11, s11, 24
	s_mul_hi_u32 s12, s10, 24
	s_mul_i32 s10, s10, 24
	s_add_i32 s11, s12, s11
	v_mov_b32_e32 v1, s11
	v_add_co_u32_e32 v0, vcc, s10, v4
	v_addc_co_u32_e32 v1, vcc, v5, v1, vcc
	global_store_dwordx2 v[0:1], v[14:15], off
	s_waitcnt vmcnt(0)
	global_atomic_cmpswap_x2 v[5:6], v7, v[12:15], s[6:7] offset:32 glc
	s_waitcnt vmcnt(0)
	v_cmp_ne_u64_e32 vcc, v[5:6], v[14:15]
	s_and_saveexec_b64 s[10:11], vcc
	s_cbranch_execz .LBB6_599
; %bb.597:
	s_mov_b64 s[12:13], 0
.LBB6_598:                              ; =>This Inner Loop Header: Depth=1
	s_sleep 1
	global_store_dwordx2 v[0:1], v[5:6], off
	v_mov_b32_e32 v3, s8
	v_mov_b32_e32 v4, s9
	s_waitcnt vmcnt(0)
	global_atomic_cmpswap_x2 v[3:4], v7, v[3:6], s[6:7] offset:32 glc
	s_waitcnt vmcnt(0)
	v_cmp_eq_u64_e32 vcc, v[3:4], v[5:6]
	v_mov_b32_e32 v6, v4
	s_or_b64 s[12:13], vcc, s[12:13]
	v_mov_b32_e32 v5, v3
	s_andn2_b64 exec, exec, s[12:13]
	s_cbranch_execnz .LBB6_598
.LBB6_599:
	s_or_b64 exec, exec, s[10:11]
	v_mov_b32_e32 v4, 0
	global_load_dwordx2 v[0:1], v4, s[6:7] offset:16
	s_mov_b64 s[10:11], exec
	v_mbcnt_lo_u32_b32 v3, s10, 0
	v_mbcnt_hi_u32_b32 v3, s11, v3
	v_cmp_eq_u32_e32 vcc, 0, v3
	s_and_saveexec_b64 s[12:13], vcc
	s_cbranch_execz .LBB6_601
; %bb.600:
	s_bcnt1_i32_b64 s10, s[10:11]
	v_mov_b32_e32 v3, s10
	s_waitcnt vmcnt(0)
	global_atomic_add_x2 v[0:1], v[3:4], off offset:8
.LBB6_601:
	s_or_b64 exec, exec, s[12:13]
	s_waitcnt vmcnt(0)
	global_load_dwordx2 v[3:4], v[0:1], off offset:16
	s_waitcnt vmcnt(0)
	v_cmp_eq_u64_e32 vcc, 0, v[3:4]
	s_cbranch_vccnz .LBB6_603
; %bb.602:
	global_load_dword v0, v[0:1], off offset:24
	v_mov_b32_e32 v1, 0
	s_waitcnt vmcnt(0)
	v_readfirstlane_b32 s10, v0
	s_and_b32 m0, s10, 0xffffff
	global_store_dwordx2 v[3:4], v[0:1], off
	s_sendmsg sendmsg(MSG_INTERRUPT)
.LBB6_603:
	s_or_b64 exec, exec, s[0:1]
	s_branch .LBB6_607
.LBB6_604:                              ;   in Loop: Header=BB6_607 Depth=1
	s_or_b64 exec, exec, s[0:1]
	v_readfirstlane_b32 s0, v0
	s_cmp_eq_u32 s0, 0
	s_cbranch_scc1 .LBB6_606
; %bb.605:                              ;   in Loop: Header=BB6_607 Depth=1
	s_sleep 1
	s_cbranch_execnz .LBB6_607
	s_branch .LBB6_609
.LBB6_606:
	s_branch .LBB6_609
.LBB6_607:                              ; =>This Inner Loop Header: Depth=1
	v_mov_b32_e32 v0, 1
	s_and_saveexec_b64 s[0:1], s[2:3]
	s_cbranch_execz .LBB6_604
; %bb.608:                              ;   in Loop: Header=BB6_607 Depth=1
	global_load_dword v0, v[8:9], off offset:20 glc
	s_waitcnt vmcnt(0)
	buffer_wbinvl1_vol
	v_and_b32_e32 v0, 1, v0
	s_branch .LBB6_604
.LBB6_609:
	global_load_dwordx2 v[3:4], v[10:11], off
	s_and_saveexec_b64 s[0:1], s[2:3]
	s_cbranch_execz .LBB6_612
; %bb.610:
	v_mov_b32_e32 v9, 0
	global_load_dwordx2 v[0:1], v9, s[6:7] offset:40
	global_load_dwordx2 v[12:13], v9, s[6:7] offset:24 glc
	global_load_dwordx2 v[5:6], v9, s[6:7]
	s_waitcnt vmcnt(2)
	v_readfirstlane_b32 s10, v0
	v_readfirstlane_b32 s11, v1
	s_add_u32 s12, s10, 1
	s_addc_u32 s13, s11, 0
	s_add_u32 s2, s12, s8
	s_addc_u32 s3, s13, s9
	s_cmp_eq_u64 s[2:3], 0
	s_cselect_b32 s3, s13, s3
	s_cselect_b32 s2, s12, s2
	s_and_b64 s[8:9], s[2:3], s[10:11]
	s_mul_i32 s9, s9, 24
	s_mul_hi_u32 s10, s8, 24
	s_mul_i32 s8, s8, 24
	s_add_i32 s9, s10, s9
	v_mov_b32_e32 v1, s9
	s_waitcnt vmcnt(0)
	v_add_co_u32_e32 v0, vcc, s8, v5
	v_addc_co_u32_e32 v1, vcc, v6, v1, vcc
	v_mov_b32_e32 v10, s2
	global_store_dwordx2 v[0:1], v[12:13], off
	v_mov_b32_e32 v11, s3
	s_waitcnt vmcnt(0)
	global_atomic_cmpswap_x2 v[7:8], v9, v[10:13], s[6:7] offset:24 glc
	s_mov_b64 s[8:9], 0
	s_waitcnt vmcnt(0)
	v_cmp_ne_u64_e32 vcc, v[7:8], v[12:13]
	s_and_b64 exec, exec, vcc
	s_cbranch_execz .LBB6_612
.LBB6_611:                              ; =>This Inner Loop Header: Depth=1
	s_sleep 1
	global_store_dwordx2 v[0:1], v[7:8], off
	v_mov_b32_e32 v5, s2
	v_mov_b32_e32 v6, s3
	s_waitcnt vmcnt(0)
	global_atomic_cmpswap_x2 v[5:6], v9, v[5:8], s[6:7] offset:24 glc
	s_waitcnt vmcnt(0)
	v_cmp_eq_u64_e32 vcc, v[5:6], v[7:8]
	v_mov_b32_e32 v8, v6
	s_or_b64 s[8:9], vcc, s[8:9]
	v_mov_b32_e32 v7, v5
	s_andn2_b64 exec, exec, s[8:9]
	s_cbranch_execnz .LBB6_611
.LBB6_612:
	s_or_b64 exec, exec, s[0:1]
	v_readfirstlane_b32 s0, v33
	v_mov_b32_e32 v0, 0
	v_mov_b32_e32 v1, 0
	v_cmp_eq_u32_e64 s[0:1], s0, v33
	s_and_saveexec_b64 s[2:3], s[0:1]
	s_cbranch_execz .LBB6_618
; %bb.613:
	v_mov_b32_e32 v5, 0
	global_load_dwordx2 v[8:9], v5, s[6:7] offset:24 glc
	s_waitcnt vmcnt(0)
	buffer_wbinvl1_vol
	global_load_dwordx2 v[0:1], v5, s[6:7] offset:40
	global_load_dwordx2 v[6:7], v5, s[6:7]
	s_waitcnt vmcnt(1)
	v_and_b32_e32 v0, v0, v8
	v_and_b32_e32 v1, v1, v9
	v_mul_lo_u32 v1, v1, 24
	v_mul_hi_u32 v10, v0, 24
	v_mul_lo_u32 v0, v0, 24
	v_add_u32_e32 v1, v10, v1
	s_waitcnt vmcnt(0)
	v_add_co_u32_e32 v0, vcc, v6, v0
	v_addc_co_u32_e32 v1, vcc, v7, v1, vcc
	global_load_dwordx2 v[6:7], v[0:1], off glc
	s_waitcnt vmcnt(0)
	global_atomic_cmpswap_x2 v[0:1], v5, v[6:9], s[6:7] offset:24 glc
	s_waitcnt vmcnt(0)
	buffer_wbinvl1_vol
	v_cmp_ne_u64_e32 vcc, v[0:1], v[8:9]
	s_and_saveexec_b64 s[8:9], vcc
	s_cbranch_execz .LBB6_617
; %bb.614:
	s_mov_b64 s[10:11], 0
.LBB6_615:                              ; =>This Inner Loop Header: Depth=1
	s_sleep 1
	global_load_dwordx2 v[6:7], v5, s[6:7] offset:40
	global_load_dwordx2 v[10:11], v5, s[6:7]
	v_mov_b32_e32 v9, v1
	v_mov_b32_e32 v8, v0
	s_waitcnt vmcnt(1)
	v_and_b32_e32 v0, v6, v8
	s_waitcnt vmcnt(0)
	v_mad_u64_u32 v[0:1], s[12:13], v0, 24, v[10:11]
	v_and_b32_e32 v6, v7, v9
	v_mad_u64_u32 v[6:7], s[12:13], v6, 24, v[1:2]
	v_mov_b32_e32 v1, v6
	global_load_dwordx2 v[6:7], v[0:1], off glc
	s_waitcnt vmcnt(0)
	global_atomic_cmpswap_x2 v[0:1], v5, v[6:9], s[6:7] offset:24 glc
	s_waitcnt vmcnt(0)
	buffer_wbinvl1_vol
	v_cmp_eq_u64_e32 vcc, v[0:1], v[8:9]
	s_or_b64 s[10:11], vcc, s[10:11]
	s_andn2_b64 exec, exec, s[10:11]
	s_cbranch_execnz .LBB6_615
; %bb.616:
	s_or_b64 exec, exec, s[10:11]
.LBB6_617:
	s_or_b64 exec, exec, s[8:9]
.LBB6_618:
	s_or_b64 exec, exec, s[2:3]
	v_mov_b32_e32 v6, 0
	global_load_dwordx2 v[11:12], v6, s[6:7] offset:40
	global_load_dwordx4 v[7:10], v6, s[6:7]
	v_readfirstlane_b32 s3, v1
	v_readfirstlane_b32 s2, v0
	s_mov_b64 s[8:9], exec
	s_waitcnt vmcnt(1)
	v_readfirstlane_b32 s10, v11
	v_readfirstlane_b32 s11, v12
	s_and_b64 s[10:11], s[10:11], s[2:3]
	s_mul_i32 s12, s11, 24
	s_mul_hi_u32 s13, s10, 24
	s_mul_i32 s14, s10, 24
	s_add_i32 s12, s13, s12
	v_mov_b32_e32 v1, s12
	s_waitcnt vmcnt(0)
	v_add_co_u32_e32 v0, vcc, s14, v7
	v_addc_co_u32_e32 v1, vcc, v8, v1, vcc
	s_and_saveexec_b64 s[12:13], s[0:1]
	s_cbranch_execz .LBB6_620
; %bb.619:
	v_mov_b32_e32 v12, s9
	v_mov_b32_e32 v11, s8
	;; [unrolled: 1-line block ×4, first 2 shown]
	global_store_dwordx4 v[0:1], v[11:14], off offset:8
.LBB6_620:
	s_or_b64 exec, exec, s[12:13]
	s_lshl_b64 s[8:9], s[10:11], 12
	v_mov_b32_e32 v5, s9
	v_add_co_u32_e32 v9, vcc, s8, v9
	s_movk_i32 s8, 0xff1f
	v_addc_co_u32_e32 v12, vcc, v10, v5, vcc
	v_and_or_b32 v3, v3, s8, 32
	s_mov_b32 s8, 0
	v_add_co_u32_e32 v10, vcc, v9, v32
	s_mov_b32 s11, s8
	v_addc_co_u32_e32 v11, vcc, 0, v12, vcc
	v_readfirstlane_b32 s13, v12
	s_mov_b32 s9, s8
	s_mov_b32 s10, s8
	v_mov_b32_e32 v15, s11
	v_lshrrev_b32_e32 v5, 5, v26
	v_readfirstlane_b32 s12, v9
	v_mov_b32_e32 v14, s10
	v_mov_b32_e32 v13, s9
	;; [unrolled: 1-line block ×3, first 2 shown]
	s_nop 1
	global_store_dwordx4 v32, v[3:6], s[12:13]
	global_store_dwordx4 v32, v[12:15], s[12:13] offset:16
	global_store_dwordx4 v32, v[12:15], s[12:13] offset:32
	global_store_dwordx4 v32, v[12:15], s[12:13] offset:48
	s_and_saveexec_b64 s[8:9], s[0:1]
	s_cbranch_execz .LBB6_628
; %bb.621:
	v_mov_b32_e32 v12, 0
	global_load_dwordx2 v[15:16], v12, s[6:7] offset:32 glc
	global_load_dwordx2 v[3:4], v12, s[6:7] offset:40
	v_mov_b32_e32 v13, s2
	v_mov_b32_e32 v14, s3
	s_waitcnt vmcnt(0)
	v_readfirstlane_b32 s10, v3
	v_readfirstlane_b32 s11, v4
	s_and_b64 s[10:11], s[10:11], s[2:3]
	s_mul_i32 s11, s11, 24
	s_mul_hi_u32 s12, s10, 24
	s_mul_i32 s10, s10, 24
	s_add_i32 s11, s12, s11
	v_mov_b32_e32 v4, s11
	v_add_co_u32_e32 v3, vcc, s10, v7
	v_addc_co_u32_e32 v4, vcc, v8, v4, vcc
	global_store_dwordx2 v[3:4], v[15:16], off
	s_waitcnt vmcnt(0)
	global_atomic_cmpswap_x2 v[8:9], v12, v[13:16], s[6:7] offset:32 glc
	s_waitcnt vmcnt(0)
	v_cmp_ne_u64_e32 vcc, v[8:9], v[15:16]
	s_and_saveexec_b64 s[10:11], vcc
	s_cbranch_execz .LBB6_624
; %bb.622:
	s_mov_b64 s[12:13], 0
.LBB6_623:                              ; =>This Inner Loop Header: Depth=1
	s_sleep 1
	global_store_dwordx2 v[3:4], v[8:9], off
	v_mov_b32_e32 v6, s2
	v_mov_b32_e32 v7, s3
	s_waitcnt vmcnt(0)
	global_atomic_cmpswap_x2 v[6:7], v12, v[6:9], s[6:7] offset:32 glc
	s_waitcnt vmcnt(0)
	v_cmp_eq_u64_e32 vcc, v[6:7], v[8:9]
	v_mov_b32_e32 v9, v7
	s_or_b64 s[12:13], vcc, s[12:13]
	v_mov_b32_e32 v8, v6
	s_andn2_b64 exec, exec, s[12:13]
	s_cbranch_execnz .LBB6_623
.LBB6_624:
	s_or_b64 exec, exec, s[10:11]
	v_mov_b32_e32 v7, 0
	global_load_dwordx2 v[3:4], v7, s[6:7] offset:16
	s_mov_b64 s[10:11], exec
	v_mbcnt_lo_u32_b32 v6, s10, 0
	v_mbcnt_hi_u32_b32 v6, s11, v6
	v_cmp_eq_u32_e32 vcc, 0, v6
	s_and_saveexec_b64 s[12:13], vcc
	s_cbranch_execz .LBB6_626
; %bb.625:
	s_bcnt1_i32_b64 s10, s[10:11]
	v_mov_b32_e32 v6, s10
	s_waitcnt vmcnt(0)
	global_atomic_add_x2 v[3:4], v[6:7], off offset:8
.LBB6_626:
	s_or_b64 exec, exec, s[12:13]
	s_waitcnt vmcnt(0)
	global_load_dwordx2 v[6:7], v[3:4], off offset:16
	s_waitcnt vmcnt(0)
	v_cmp_eq_u64_e32 vcc, 0, v[6:7]
	s_cbranch_vccnz .LBB6_628
; %bb.627:
	global_load_dword v3, v[3:4], off offset:24
	v_mov_b32_e32 v4, 0
	s_waitcnt vmcnt(0)
	v_readfirstlane_b32 s10, v3
	s_and_b32 m0, s10, 0xffffff
	global_store_dwordx2 v[6:7], v[3:4], off
	s_sendmsg sendmsg(MSG_INTERRUPT)
.LBB6_628:
	s_or_b64 exec, exec, s[8:9]
	s_branch .LBB6_632
.LBB6_629:                              ;   in Loop: Header=BB6_632 Depth=1
	s_or_b64 exec, exec, s[8:9]
	v_readfirstlane_b32 s8, v3
	s_cmp_eq_u32 s8, 0
	s_cbranch_scc1 .LBB6_631
; %bb.630:                              ;   in Loop: Header=BB6_632 Depth=1
	s_sleep 1
	s_cbranch_execnz .LBB6_632
	s_branch .LBB6_634
.LBB6_631:
	s_branch .LBB6_634
.LBB6_632:                              ; =>This Inner Loop Header: Depth=1
	v_mov_b32_e32 v3, 1
	s_and_saveexec_b64 s[8:9], s[0:1]
	s_cbranch_execz .LBB6_629
; %bb.633:                              ;   in Loop: Header=BB6_632 Depth=1
	global_load_dword v3, v[0:1], off offset:20 glc
	s_waitcnt vmcnt(0)
	buffer_wbinvl1_vol
	v_and_b32_e32 v3, 1, v3
	s_branch .LBB6_629
.LBB6_634:
	global_load_dwordx2 v[6:7], v[10:11], off
	s_and_saveexec_b64 s[8:9], s[0:1]
	s_cbranch_execz .LBB6_637
; %bb.635:
	v_mov_b32_e32 v3, 0
	global_load_dwordx2 v[0:1], v3, s[6:7] offset:40
	global_load_dwordx2 v[12:13], v3, s[6:7] offset:24 glc
	global_load_dwordx2 v[8:9], v3, s[6:7]
	s_waitcnt vmcnt(2)
	v_readfirstlane_b32 s10, v0
	v_readfirstlane_b32 s11, v1
	s_add_u32 s12, s10, 1
	s_addc_u32 s13, s11, 0
	s_add_u32 s0, s12, s2
	s_addc_u32 s1, s13, s3
	s_cmp_eq_u64 s[0:1], 0
	s_cselect_b32 s1, s13, s1
	s_cselect_b32 s0, s12, s0
	s_and_b64 s[2:3], s[0:1], s[10:11]
	s_mul_i32 s3, s3, 24
	s_mul_hi_u32 s10, s2, 24
	s_mul_i32 s2, s2, 24
	s_add_i32 s3, s10, s3
	v_mov_b32_e32 v1, s3
	s_waitcnt vmcnt(0)
	v_add_co_u32_e32 v0, vcc, s2, v8
	v_addc_co_u32_e32 v1, vcc, v9, v1, vcc
	v_mov_b32_e32 v10, s0
	global_store_dwordx2 v[0:1], v[12:13], off
	v_mov_b32_e32 v11, s1
	s_waitcnt vmcnt(0)
	global_atomic_cmpswap_x2 v[10:11], v3, v[10:13], s[6:7] offset:24 glc
	s_mov_b64 s[2:3], 0
	s_waitcnt vmcnt(0)
	v_cmp_ne_u64_e32 vcc, v[10:11], v[12:13]
	s_and_b64 exec, exec, vcc
	s_cbranch_execz .LBB6_637
.LBB6_636:                              ; =>This Inner Loop Header: Depth=1
	s_sleep 1
	global_store_dwordx2 v[0:1], v[10:11], off
	v_mov_b32_e32 v8, s0
	v_mov_b32_e32 v9, s1
	s_waitcnt vmcnt(0)
	global_atomic_cmpswap_x2 v[8:9], v3, v[8:11], s[6:7] offset:24 glc
	s_waitcnt vmcnt(0)
	v_cmp_eq_u64_e32 vcc, v[8:9], v[10:11]
	v_mov_b32_e32 v11, v9
	s_or_b64 s[2:3], vcc, s[2:3]
	v_mov_b32_e32 v10, v8
	s_andn2_b64 exec, exec, s[2:3]
	s_cbranch_execnz .LBB6_636
.LBB6_637:
	s_or_b64 exec, exec, s[8:9]
	v_readfirstlane_b32 s0, v33
	v_mov_b32_e32 v0, 0
	v_mov_b32_e32 v1, 0
	v_cmp_eq_u32_e64 s[0:1], s0, v33
	s_and_saveexec_b64 s[2:3], s[0:1]
	s_cbranch_execz .LBB6_643
; %bb.638:
	v_mov_b32_e32 v3, 0
	global_load_dwordx2 v[10:11], v3, s[6:7] offset:24 glc
	s_waitcnt vmcnt(0)
	buffer_wbinvl1_vol
	global_load_dwordx2 v[0:1], v3, s[6:7] offset:40
	global_load_dwordx2 v[8:9], v3, s[6:7]
	s_waitcnt vmcnt(1)
	v_and_b32_e32 v0, v0, v10
	v_and_b32_e32 v1, v1, v11
	v_mul_lo_u32 v1, v1, 24
	v_mul_hi_u32 v4, v0, 24
	v_mul_lo_u32 v0, v0, 24
	v_add_u32_e32 v1, v4, v1
	s_waitcnt vmcnt(0)
	v_add_co_u32_e32 v0, vcc, v8, v0
	v_addc_co_u32_e32 v1, vcc, v9, v1, vcc
	global_load_dwordx2 v[8:9], v[0:1], off glc
	s_waitcnt vmcnt(0)
	global_atomic_cmpswap_x2 v[0:1], v3, v[8:11], s[6:7] offset:24 glc
	s_waitcnt vmcnt(0)
	buffer_wbinvl1_vol
	v_cmp_ne_u64_e32 vcc, v[0:1], v[10:11]
	s_and_saveexec_b64 s[8:9], vcc
	s_cbranch_execz .LBB6_642
; %bb.639:
	s_mov_b64 s[10:11], 0
.LBB6_640:                              ; =>This Inner Loop Header: Depth=1
	s_sleep 1
	global_load_dwordx2 v[8:9], v3, s[6:7] offset:40
	global_load_dwordx2 v[12:13], v3, s[6:7]
	v_mov_b32_e32 v11, v1
	v_mov_b32_e32 v10, v0
	s_waitcnt vmcnt(1)
	v_and_b32_e32 v0, v8, v10
	s_waitcnt vmcnt(0)
	v_mad_u64_u32 v[0:1], s[12:13], v0, 24, v[12:13]
	v_and_b32_e32 v4, v9, v11
	v_mad_u64_u32 v[8:9], s[12:13], v4, 24, v[1:2]
	v_mov_b32_e32 v1, v8
	global_load_dwordx2 v[8:9], v[0:1], off glc
	s_waitcnt vmcnt(0)
	global_atomic_cmpswap_x2 v[0:1], v3, v[8:11], s[6:7] offset:24 glc
	s_waitcnt vmcnt(0)
	buffer_wbinvl1_vol
	v_cmp_eq_u64_e32 vcc, v[0:1], v[10:11]
	s_or_b64 s[10:11], vcc, s[10:11]
	s_andn2_b64 exec, exec, s[10:11]
	s_cbranch_execnz .LBB6_640
; %bb.641:
	s_or_b64 exec, exec, s[10:11]
.LBB6_642:
	s_or_b64 exec, exec, s[8:9]
.LBB6_643:
	s_or_b64 exec, exec, s[2:3]
	v_mov_b32_e32 v9, 0
	global_load_dwordx2 v[3:4], v9, s[6:7] offset:40
	global_load_dwordx4 v[10:13], v9, s[6:7]
	v_readfirstlane_b32 s3, v1
	v_readfirstlane_b32 s2, v0
	s_mov_b64 s[8:9], exec
	s_waitcnt vmcnt(1)
	v_readfirstlane_b32 s10, v3
	v_readfirstlane_b32 s11, v4
	s_and_b64 s[10:11], s[10:11], s[2:3]
	s_mul_i32 s12, s11, 24
	s_mul_hi_u32 s13, s10, 24
	s_mul_i32 s14, s10, 24
	s_add_i32 s12, s13, s12
	v_mov_b32_e32 v1, s12
	s_waitcnt vmcnt(0)
	v_add_co_u32_e32 v0, vcc, s14, v10
	v_addc_co_u32_e32 v1, vcc, v11, v1, vcc
	s_and_saveexec_b64 s[12:13], s[0:1]
	s_cbranch_execz .LBB6_645
; %bb.644:
	v_mov_b32_e32 v15, s9
	v_mov_b32_e32 v14, s8
	;; [unrolled: 1-line block ×4, first 2 shown]
	global_store_dwordx4 v[0:1], v[14:17], off offset:8
.LBB6_645:
	s_or_b64 exec, exec, s[12:13]
	s_lshl_b64 s[8:9], s[10:11], 12
	v_mov_b32_e32 v3, s9
	v_add_co_u32_e32 v4, vcc, s8, v12
	s_add_i32 s26, s26, 31
	v_addc_co_u32_e32 v3, vcc, v13, v3, vcc
	s_lshr_b32 s9, s26, 5
	s_movk_i32 s10, 0xff1d
	s_mov_b32 s8, 0
	v_and_or_b32 v6, v6, s10, 34
	v_mov_b32_e32 v8, s9
	v_readfirstlane_b32 s12, v4
	v_readfirstlane_b32 s13, v3
	s_mov_b32 s9, s8
	s_mov_b32 s10, s8
	;; [unrolled: 1-line block ×3, first 2 shown]
	s_nop 1
	global_store_dwordx4 v32, v[6:9], s[12:13]
	s_nop 0
	v_mov_b32_e32 v6, s8
	v_mov_b32_e32 v7, s9
	;; [unrolled: 1-line block ×4, first 2 shown]
	global_store_dwordx4 v32, v[6:9], s[12:13] offset:16
	global_store_dwordx4 v32, v[6:9], s[12:13] offset:32
	;; [unrolled: 1-line block ×3, first 2 shown]
	s_and_saveexec_b64 s[8:9], s[0:1]
	s_cbranch_execz .LBB6_653
; %bb.646:
	v_mov_b32_e32 v12, 0
	global_load_dwordx2 v[15:16], v12, s[6:7] offset:32 glc
	global_load_dwordx2 v[3:4], v12, s[6:7] offset:40
	v_mov_b32_e32 v13, s2
	v_mov_b32_e32 v14, s3
	s_waitcnt vmcnt(0)
	v_readfirstlane_b32 s10, v3
	v_readfirstlane_b32 s11, v4
	s_and_b64 s[10:11], s[10:11], s[2:3]
	s_mul_i32 s11, s11, 24
	s_mul_hi_u32 s12, s10, 24
	s_mul_i32 s10, s10, 24
	s_add_i32 s11, s12, s11
	v_mov_b32_e32 v4, s11
	v_add_co_u32_e32 v3, vcc, s10, v10
	v_addc_co_u32_e32 v4, vcc, v11, v4, vcc
	global_store_dwordx2 v[3:4], v[15:16], off
	s_waitcnt vmcnt(0)
	global_atomic_cmpswap_x2 v[8:9], v12, v[13:16], s[6:7] offset:32 glc
	s_waitcnt vmcnt(0)
	v_cmp_ne_u64_e32 vcc, v[8:9], v[15:16]
	s_and_saveexec_b64 s[10:11], vcc
	s_cbranch_execz .LBB6_649
; %bb.647:
	s_mov_b64 s[12:13], 0
.LBB6_648:                              ; =>This Inner Loop Header: Depth=1
	s_sleep 1
	global_store_dwordx2 v[3:4], v[8:9], off
	v_mov_b32_e32 v6, s2
	v_mov_b32_e32 v7, s3
	s_waitcnt vmcnt(0)
	global_atomic_cmpswap_x2 v[6:7], v12, v[6:9], s[6:7] offset:32 glc
	s_waitcnt vmcnt(0)
	v_cmp_eq_u64_e32 vcc, v[6:7], v[8:9]
	v_mov_b32_e32 v9, v7
	s_or_b64 s[12:13], vcc, s[12:13]
	v_mov_b32_e32 v8, v6
	s_andn2_b64 exec, exec, s[12:13]
	s_cbranch_execnz .LBB6_648
.LBB6_649:
	s_or_b64 exec, exec, s[10:11]
	v_mov_b32_e32 v7, 0
	global_load_dwordx2 v[3:4], v7, s[6:7] offset:16
	s_mov_b64 s[10:11], exec
	v_mbcnt_lo_u32_b32 v6, s10, 0
	v_mbcnt_hi_u32_b32 v6, s11, v6
	v_cmp_eq_u32_e32 vcc, 0, v6
	s_and_saveexec_b64 s[12:13], vcc
	s_cbranch_execz .LBB6_651
; %bb.650:
	s_bcnt1_i32_b64 s10, s[10:11]
	v_mov_b32_e32 v6, s10
	s_waitcnt vmcnt(0)
	global_atomic_add_x2 v[3:4], v[6:7], off offset:8
.LBB6_651:
	s_or_b64 exec, exec, s[12:13]
	s_waitcnt vmcnt(0)
	global_load_dwordx2 v[6:7], v[3:4], off offset:16
	s_waitcnt vmcnt(0)
	v_cmp_eq_u64_e32 vcc, 0, v[6:7]
	s_cbranch_vccnz .LBB6_653
; %bb.652:
	global_load_dword v3, v[3:4], off offset:24
	v_mov_b32_e32 v4, 0
	s_waitcnt vmcnt(0)
	v_readfirstlane_b32 s10, v3
	s_and_b32 m0, s10, 0xffffff
	global_store_dwordx2 v[6:7], v[3:4], off
	s_sendmsg sendmsg(MSG_INTERRUPT)
.LBB6_653:
	s_or_b64 exec, exec, s[8:9]
	s_branch .LBB6_657
.LBB6_654:                              ;   in Loop: Header=BB6_657 Depth=1
	s_or_b64 exec, exec, s[8:9]
	v_readfirstlane_b32 s8, v3
	s_cmp_eq_u32 s8, 0
	s_cbranch_scc1 .LBB6_656
; %bb.655:                              ;   in Loop: Header=BB6_657 Depth=1
	s_sleep 1
	s_cbranch_execnz .LBB6_657
	s_branch .LBB6_659
.LBB6_656:
	s_branch .LBB6_659
.LBB6_657:                              ; =>This Inner Loop Header: Depth=1
	v_mov_b32_e32 v3, 1
	s_and_saveexec_b64 s[8:9], s[0:1]
	s_cbranch_execz .LBB6_654
; %bb.658:                              ;   in Loop: Header=BB6_657 Depth=1
	global_load_dword v3, v[0:1], off offset:20 glc
	s_waitcnt vmcnt(0)
	buffer_wbinvl1_vol
	v_and_b32_e32 v3, 1, v3
	s_branch .LBB6_654
.LBB6_659:
	s_and_saveexec_b64 s[8:9], s[0:1]
	s_cbranch_execz .LBB6_662
; %bb.660:
	v_mov_b32_e32 v3, 0
	global_load_dwordx2 v[0:1], v3, s[6:7] offset:40
	global_load_dwordx2 v[10:11], v3, s[6:7] offset:24 glc
	global_load_dwordx2 v[6:7], v3, s[6:7]
	s_waitcnt vmcnt(2)
	v_readfirstlane_b32 s10, v0
	v_readfirstlane_b32 s11, v1
	s_add_u32 s12, s10, 1
	s_addc_u32 s13, s11, 0
	s_add_u32 s0, s12, s2
	s_addc_u32 s1, s13, s3
	s_cmp_eq_u64 s[0:1], 0
	s_cselect_b32 s1, s13, s1
	s_cselect_b32 s0, s12, s0
	s_and_b64 s[2:3], s[0:1], s[10:11]
	s_mul_i32 s3, s3, 24
	s_mul_hi_u32 s10, s2, 24
	s_mul_i32 s2, s2, 24
	s_add_i32 s3, s10, s3
	v_mov_b32_e32 v1, s3
	s_waitcnt vmcnt(0)
	v_add_co_u32_e32 v0, vcc, s2, v6
	v_addc_co_u32_e32 v1, vcc, v7, v1, vcc
	v_mov_b32_e32 v8, s0
	global_store_dwordx2 v[0:1], v[10:11], off
	v_mov_b32_e32 v9, s1
	s_waitcnt vmcnt(0)
	global_atomic_cmpswap_x2 v[8:9], v3, v[8:11], s[6:7] offset:24 glc
	s_mov_b64 s[2:3], 0
	s_waitcnt vmcnt(0)
	v_cmp_ne_u64_e32 vcc, v[8:9], v[10:11]
	s_and_b64 exec, exec, vcc
	s_cbranch_execz .LBB6_662
.LBB6_661:                              ; =>This Inner Loop Header: Depth=1
	s_sleep 1
	global_store_dwordx2 v[0:1], v[8:9], off
	v_mov_b32_e32 v6, s0
	v_mov_b32_e32 v7, s1
	s_waitcnt vmcnt(0)
	global_atomic_cmpswap_x2 v[6:7], v3, v[6:9], s[6:7] offset:24 glc
	s_waitcnt vmcnt(0)
	v_cmp_eq_u64_e32 vcc, v[6:7], v[8:9]
	v_mov_b32_e32 v9, v7
	s_or_b64 s[2:3], vcc, s[2:3]
	v_mov_b32_e32 v8, v6
	s_andn2_b64 exec, exec, s[2:3]
	s_cbranch_execnz .LBB6_661
.LBB6_662:
	s_or_b64 exec, exec, s[8:9]
	s_load_dwordx2 s[0:1], s[4:5], 0x0
	v_lshlrev_b32_e32 v0, 2, v5
	s_waitcnt lgkmcnt(0)
	global_store_dword v0, v2, s[0:1]
	s_endpgm
	.section	.rodata,"a",@progbits
	.p2align	6, 0x0
	.amdhsa_kernel _Z32kernel_cg_group_partition_staticILj32EEvPibS0_
		.amdhsa_group_segment_fixed_size 0
		.amdhsa_private_segment_fixed_size 0
		.amdhsa_kernarg_size 280
		.amdhsa_user_sgpr_count 6
		.amdhsa_user_sgpr_private_segment_buffer 1
		.amdhsa_user_sgpr_dispatch_ptr 0
		.amdhsa_user_sgpr_queue_ptr 0
		.amdhsa_user_sgpr_kernarg_segment_ptr 1
		.amdhsa_user_sgpr_dispatch_id 0
		.amdhsa_user_sgpr_flat_scratch_init 0
		.amdhsa_user_sgpr_private_segment_size 0
		.amdhsa_uses_dynamic_stack 0
		.amdhsa_system_sgpr_private_segment_wavefront_offset 0
		.amdhsa_system_sgpr_workgroup_id_x 1
		.amdhsa_system_sgpr_workgroup_id_y 0
		.amdhsa_system_sgpr_workgroup_id_z 0
		.amdhsa_system_sgpr_workgroup_info 0
		.amdhsa_system_vgpr_workitem_id 2
		.amdhsa_next_free_vgpr 36
		.amdhsa_next_free_sgpr 30
		.amdhsa_reserve_vcc 1
		.amdhsa_reserve_flat_scratch 0
		.amdhsa_float_round_mode_32 0
		.amdhsa_float_round_mode_16_64 0
		.amdhsa_float_denorm_mode_32 3
		.amdhsa_float_denorm_mode_16_64 3
		.amdhsa_dx10_clamp 1
		.amdhsa_ieee_mode 1
		.amdhsa_fp16_overflow 0
		.amdhsa_exception_fp_ieee_invalid_op 0
		.amdhsa_exception_fp_denorm_src 0
		.amdhsa_exception_fp_ieee_div_zero 0
		.amdhsa_exception_fp_ieee_overflow 0
		.amdhsa_exception_fp_ieee_underflow 0
		.amdhsa_exception_fp_ieee_inexact 0
		.amdhsa_exception_int_div_zero 0
	.end_amdhsa_kernel
	.section	.text._Z32kernel_cg_group_partition_staticILj32EEvPibS0_,"axG",@progbits,_Z32kernel_cg_group_partition_staticILj32EEvPibS0_,comdat
.Lfunc_end6:
	.size	_Z32kernel_cg_group_partition_staticILj32EEvPibS0_, .Lfunc_end6-_Z32kernel_cg_group_partition_staticILj32EEvPibS0_
                                        ; -- End function
	.set _Z32kernel_cg_group_partition_staticILj32EEvPibS0_.num_vgpr, 36
	.set _Z32kernel_cg_group_partition_staticILj32EEvPibS0_.num_agpr, 0
	.set _Z32kernel_cg_group_partition_staticILj32EEvPibS0_.numbered_sgpr, 30
	.set _Z32kernel_cg_group_partition_staticILj32EEvPibS0_.num_named_barrier, 0
	.set _Z32kernel_cg_group_partition_staticILj32EEvPibS0_.private_seg_size, 0
	.set _Z32kernel_cg_group_partition_staticILj32EEvPibS0_.uses_vcc, 1
	.set _Z32kernel_cg_group_partition_staticILj32EEvPibS0_.uses_flat_scratch, 0
	.set _Z32kernel_cg_group_partition_staticILj32EEvPibS0_.has_dyn_sized_stack, 0
	.set _Z32kernel_cg_group_partition_staticILj32EEvPibS0_.has_recursion, 0
	.set _Z32kernel_cg_group_partition_staticILj32EEvPibS0_.has_indirect_call, 0
	.section	.AMDGPU.csdata,"",@progbits
; Kernel info:
; codeLenInByte = 25068
; TotalNumSgprs: 34
; NumVgprs: 36
; ScratchSize: 0
; MemoryBound: 0
; FloatMode: 240
; IeeeMode: 1
; LDSByteSize: 0 bytes/workgroup (compile time only)
; SGPRBlocks: 4
; VGPRBlocks: 8
; NumSGPRsForWavesPerEU: 34
; NumVGPRsForWavesPerEU: 36
; Occupancy: 7
; WaveLimiterHint : 1
; COMPUTE_PGM_RSRC2:SCRATCH_EN: 0
; COMPUTE_PGM_RSRC2:USER_SGPR: 6
; COMPUTE_PGM_RSRC2:TRAP_HANDLER: 0
; COMPUTE_PGM_RSRC2:TGID_X_EN: 1
; COMPUTE_PGM_RSRC2:TGID_Y_EN: 0
; COMPUTE_PGM_RSRC2:TGID_Z_EN: 0
; COMPUTE_PGM_RSRC2:TIDIG_COMP_CNT: 2
	.section	.AMDGPU.gpr_maximums,"",@progbits
	.set amdgpu.max_num_vgpr, 0
	.set amdgpu.max_num_agpr, 0
	.set amdgpu.max_num_sgpr, 0
	.section	.AMDGPU.csdata,"",@progbits
	.type	.str,@object                    ; @.str
	.section	.rodata.str1.1,"aMS",@progbits,1
.str:
	.asciz	"\n\n\n Sum of all ranks 0..%d in threadBlockCooperativeGroup is %d\n\n"
	.size	.str, 66

	.type	.str.1,@object                  ; @.str.1
.str.1:
	.asciz	" Creating %d groups, of tile size %d threads:\n\n"
	.size	.str.1, 48

	.type	.str.2,@object                  ; @.str.2
.str.2:
	.asciz	"   Sum of all ranks 0..%d in this tiledPartition group is %d. Corresponding parent thread rank: %d\n"
	.size	.str.2, 100

	.type	.str.3,@object                  ; @.str.3
.str.3:
	.asciz	"Outer tile %d (size=%u), inner subtile %d (size=%u) subtotal = %d\n"
	.size	.str.3, 67

	.type	.str.8,@object                  ; @.str.8
.str.8:
	.asciz	" Sum of all ranks 0..%d in threadBlockCooperativeGroup is %d (expected %d)\n\n"
	.size	.str.8, 77

	.type	.str.9,@object                  ; @.str.9
.str.9:
	.asciz	"   Sum of all ranks 0..%d in this tiledPartition group is %d. Corresponding parent thread rank: via meta_group_rank : %d and the total number of groups created when partitioned : %d\n"
	.size	.str.9, 183

	.type	__hip_cuid_464098e69e2afc02,@object ; @__hip_cuid_464098e69e2afc02
	.section	.bss,"aw",@nobits
	.globl	__hip_cuid_464098e69e2afc02
__hip_cuid_464098e69e2afc02:
	.byte	0                               ; 0x0
	.size	__hip_cuid_464098e69e2afc02, 1

	.ident	"AMD clang version 22.0.0git (https://github.com/RadeonOpenCompute/llvm-project roc-7.2.4 26084 f58b06dce1f9c15707c5f808fd002e18c2accf7e)"
	.section	".note.GNU-stack","",@progbits
	.addrsig
	.addrsig_sym __hip_cuid_464098e69e2afc02
	.amdgpu_metadata
---
amdhsa.kernels:
  - .args:
      - .offset:         0
        .size:           4
        .value_kind:     by_value
      - .address_space:  global
        .offset:         8
        .size:           8
        .value_kind:     global_buffer
      - .offset:         16
        .size:           1
        .value_kind:     by_value
      - .address_space:  global
        .offset:         24
        .size:           8
        .value_kind:     global_buffer
      - .offset:         32
        .size:           4
        .value_kind:     hidden_block_count_x
      - .offset:         36
        .size:           4
        .value_kind:     hidden_block_count_y
      - .offset:         40
        .size:           4
        .value_kind:     hidden_block_count_z
      - .offset:         44
        .size:           2
        .value_kind:     hidden_group_size_x
      - .offset:         46
        .size:           2
        .value_kind:     hidden_group_size_y
      - .offset:         48
        .size:           2
        .value_kind:     hidden_group_size_z
      - .offset:         50
        .size:           2
        .value_kind:     hidden_remainder_x
      - .offset:         52
        .size:           2
        .value_kind:     hidden_remainder_y
      - .offset:         54
        .size:           2
        .value_kind:     hidden_remainder_z
      - .offset:         72
        .size:           8
        .value_kind:     hidden_global_offset_x
      - .offset:         80
        .size:           8
        .value_kind:     hidden_global_offset_y
      - .offset:         88
        .size:           8
        .value_kind:     hidden_global_offset_z
      - .offset:         96
        .size:           2
        .value_kind:     hidden_grid_dims
      - .offset:         112
        .size:           8
        .value_kind:     hidden_hostcall_buffer
      - .offset:         152
        .size:           4
        .value_kind:     hidden_dynamic_lds_size
    .group_segment_fixed_size: 0
    .kernarg_segment_align: 8
    .kernarg_segment_size: 288
    .language:       OpenCL C
    .language_version:
      - 2
      - 0
    .max_flat_workgroup_size: 1024
    .name:           _Z33kernel_cg_group_partition_dynamicjPibS_
    .private_segment_fixed_size: 0
    .sgpr_count:     35
    .sgpr_spill_count: 0
    .symbol:         _Z33kernel_cg_group_partition_dynamicjPibS_.kd
    .uniform_work_group_size: 1
    .uses_dynamic_stack: false
    .vgpr_count:     37
    .vgpr_spill_count: 0
    .wavefront_size: 64
  - .args:
      - .offset:         0
        .size:           4
        .value_kind:     by_value
      - .offset:         4
        .size:           4
        .value_kind:     by_value
      - .address_space:  global
        .offset:         8
        .size:           8
        .value_kind:     global_buffer
      - .offset:         16
        .size:           1
        .value_kind:     by_value
      - .address_space:  global
        .offset:         24
        .size:           8
        .value_kind:     global_buffer
      - .offset:         32
        .size:           4
        .value_kind:     hidden_block_count_x
      - .offset:         36
        .size:           4
        .value_kind:     hidden_block_count_y
      - .offset:         40
        .size:           4
        .value_kind:     hidden_block_count_z
      - .offset:         44
        .size:           2
        .value_kind:     hidden_group_size_x
      - .offset:         46
        .size:           2
        .value_kind:     hidden_group_size_y
      - .offset:         48
        .size:           2
        .value_kind:     hidden_group_size_z
      - .offset:         50
        .size:           2
        .value_kind:     hidden_remainder_x
      - .offset:         52
        .size:           2
        .value_kind:     hidden_remainder_y
      - .offset:         54
        .size:           2
        .value_kind:     hidden_remainder_z
      - .offset:         72
        .size:           8
        .value_kind:     hidden_global_offset_x
      - .offset:         80
        .size:           8
        .value_kind:     hidden_global_offset_y
      - .offset:         88
        .size:           8
        .value_kind:     hidden_global_offset_z
      - .offset:         96
        .size:           2
        .value_kind:     hidden_grid_dims
      - .offset:         112
        .size:           8
        .value_kind:     hidden_hostcall_buffer
      - .offset:         152
        .size:           4
        .value_kind:     hidden_dynamic_lds_size
    .group_segment_fixed_size: 0
    .kernarg_segment_align: 8
    .kernarg_segment_size: 288
    .language:       OpenCL C
    .language_version:
      - 2
      - 0
    .max_flat_workgroup_size: 1024
    .name:           _Z32kernel_cg_group_partition_nestedjjPibS_
    .private_segment_fixed_size: 0
    .sgpr_count:     27
    .sgpr_spill_count: 0
    .symbol:         _Z32kernel_cg_group_partition_nestedjjPibS_.kd
    .uniform_work_group_size: 1
    .uses_dynamic_stack: false
    .vgpr_count:     36
    .vgpr_spill_count: 0
    .wavefront_size: 64
  - .args:
      - .address_space:  global
        .offset:         0
        .size:           8
        .value_kind:     global_buffer
      - .offset:         8
        .size:           1
        .value_kind:     by_value
      - .address_space:  global
        .offset:         16
        .size:           8
        .value_kind:     global_buffer
      - .offset:         24
        .size:           4
        .value_kind:     hidden_block_count_x
      - .offset:         28
        .size:           4
        .value_kind:     hidden_block_count_y
      - .offset:         32
        .size:           4
        .value_kind:     hidden_block_count_z
      - .offset:         36
        .size:           2
        .value_kind:     hidden_group_size_x
      - .offset:         38
        .size:           2
        .value_kind:     hidden_group_size_y
      - .offset:         40
        .size:           2
        .value_kind:     hidden_group_size_z
      - .offset:         42
        .size:           2
        .value_kind:     hidden_remainder_x
      - .offset:         44
        .size:           2
        .value_kind:     hidden_remainder_y
      - .offset:         46
        .size:           2
        .value_kind:     hidden_remainder_z
      - .offset:         64
        .size:           8
        .value_kind:     hidden_global_offset_x
      - .offset:         72
        .size:           8
        .value_kind:     hidden_global_offset_y
      - .offset:         80
        .size:           8
        .value_kind:     hidden_global_offset_z
      - .offset:         88
        .size:           2
        .value_kind:     hidden_grid_dims
      - .offset:         104
        .size:           8
        .value_kind:     hidden_hostcall_buffer
      - .offset:         144
        .size:           4
        .value_kind:     hidden_dynamic_lds_size
    .group_segment_fixed_size: 0
    .kernarg_segment_align: 8
    .kernarg_segment_size: 280
    .language:       OpenCL C
    .language_version:
      - 2
      - 0
    .max_flat_workgroup_size: 1024
    .name:           _Z32kernel_cg_group_partition_staticILj2EEvPibS0_
    .private_segment_fixed_size: 0
    .sgpr_count:     34
    .sgpr_spill_count: 0
    .symbol:         _Z32kernel_cg_group_partition_staticILj2EEvPibS0_.kd
    .uniform_work_group_size: 1
    .uses_dynamic_stack: false
    .vgpr_count:     35
    .vgpr_spill_count: 0
    .wavefront_size: 64
  - .args:
      - .address_space:  global
        .offset:         0
        .size:           8
        .value_kind:     global_buffer
      - .offset:         8
        .size:           1
        .value_kind:     by_value
      - .address_space:  global
        .offset:         16
        .size:           8
        .value_kind:     global_buffer
      - .offset:         24
        .size:           4
        .value_kind:     hidden_block_count_x
      - .offset:         28
        .size:           4
        .value_kind:     hidden_block_count_y
      - .offset:         32
        .size:           4
        .value_kind:     hidden_block_count_z
      - .offset:         36
        .size:           2
        .value_kind:     hidden_group_size_x
      - .offset:         38
        .size:           2
        .value_kind:     hidden_group_size_y
      - .offset:         40
        .size:           2
        .value_kind:     hidden_group_size_z
      - .offset:         42
        .size:           2
        .value_kind:     hidden_remainder_x
      - .offset:         44
        .size:           2
        .value_kind:     hidden_remainder_y
      - .offset:         46
        .size:           2
        .value_kind:     hidden_remainder_z
      - .offset:         64
        .size:           8
        .value_kind:     hidden_global_offset_x
      - .offset:         72
        .size:           8
        .value_kind:     hidden_global_offset_y
      - .offset:         80
        .size:           8
        .value_kind:     hidden_global_offset_z
      - .offset:         88
        .size:           2
        .value_kind:     hidden_grid_dims
      - .offset:         104
        .size:           8
        .value_kind:     hidden_hostcall_buffer
      - .offset:         144
        .size:           4
        .value_kind:     hidden_dynamic_lds_size
    .group_segment_fixed_size: 0
    .kernarg_segment_align: 8
    .kernarg_segment_size: 280
    .language:       OpenCL C
    .language_version:
      - 2
      - 0
    .max_flat_workgroup_size: 1024
    .name:           _Z32kernel_cg_group_partition_staticILj4EEvPibS0_
    .private_segment_fixed_size: 0
    .sgpr_count:     34
    .sgpr_spill_count: 0
    .symbol:         _Z32kernel_cg_group_partition_staticILj4EEvPibS0_.kd
    .uniform_work_group_size: 1
    .uses_dynamic_stack: false
    .vgpr_count:     36
    .vgpr_spill_count: 0
    .wavefront_size: 64
  - .args:
      - .address_space:  global
        .offset:         0
        .size:           8
        .value_kind:     global_buffer
      - .offset:         8
        .size:           1
        .value_kind:     by_value
      - .address_space:  global
        .offset:         16
        .size:           8
        .value_kind:     global_buffer
      - .offset:         24
        .size:           4
        .value_kind:     hidden_block_count_x
      - .offset:         28
        .size:           4
        .value_kind:     hidden_block_count_y
      - .offset:         32
        .size:           4
        .value_kind:     hidden_block_count_z
      - .offset:         36
        .size:           2
        .value_kind:     hidden_group_size_x
      - .offset:         38
        .size:           2
        .value_kind:     hidden_group_size_y
      - .offset:         40
        .size:           2
        .value_kind:     hidden_group_size_z
      - .offset:         42
        .size:           2
        .value_kind:     hidden_remainder_x
      - .offset:         44
        .size:           2
        .value_kind:     hidden_remainder_y
      - .offset:         46
        .size:           2
        .value_kind:     hidden_remainder_z
      - .offset:         64
        .size:           8
        .value_kind:     hidden_global_offset_x
      - .offset:         72
        .size:           8
        .value_kind:     hidden_global_offset_y
      - .offset:         80
        .size:           8
        .value_kind:     hidden_global_offset_z
      - .offset:         88
        .size:           2
        .value_kind:     hidden_grid_dims
      - .offset:         104
        .size:           8
        .value_kind:     hidden_hostcall_buffer
      - .offset:         144
        .size:           4
        .value_kind:     hidden_dynamic_lds_size
    .group_segment_fixed_size: 0
    .kernarg_segment_align: 8
    .kernarg_segment_size: 280
    .language:       OpenCL C
    .language_version:
      - 2
      - 0
    .max_flat_workgroup_size: 1024
    .name:           _Z32kernel_cg_group_partition_staticILj8EEvPibS0_
    .private_segment_fixed_size: 0
    .sgpr_count:     34
    .sgpr_spill_count: 0
    .symbol:         _Z32kernel_cg_group_partition_staticILj8EEvPibS0_.kd
    .uniform_work_group_size: 1
    .uses_dynamic_stack: false
    .vgpr_count:     36
    .vgpr_spill_count: 0
    .wavefront_size: 64
  - .args:
      - .address_space:  global
        .offset:         0
        .size:           8
        .value_kind:     global_buffer
      - .offset:         8
        .size:           1
        .value_kind:     by_value
      - .address_space:  global
        .offset:         16
        .size:           8
        .value_kind:     global_buffer
      - .offset:         24
        .size:           4
        .value_kind:     hidden_block_count_x
      - .offset:         28
        .size:           4
        .value_kind:     hidden_block_count_y
      - .offset:         32
        .size:           4
        .value_kind:     hidden_block_count_z
      - .offset:         36
        .size:           2
        .value_kind:     hidden_group_size_x
      - .offset:         38
        .size:           2
        .value_kind:     hidden_group_size_y
      - .offset:         40
        .size:           2
        .value_kind:     hidden_group_size_z
      - .offset:         42
        .size:           2
        .value_kind:     hidden_remainder_x
      - .offset:         44
        .size:           2
        .value_kind:     hidden_remainder_y
      - .offset:         46
        .size:           2
        .value_kind:     hidden_remainder_z
      - .offset:         64
        .size:           8
        .value_kind:     hidden_global_offset_x
      - .offset:         72
        .size:           8
        .value_kind:     hidden_global_offset_y
      - .offset:         80
        .size:           8
        .value_kind:     hidden_global_offset_z
      - .offset:         88
        .size:           2
        .value_kind:     hidden_grid_dims
      - .offset:         104
        .size:           8
        .value_kind:     hidden_hostcall_buffer
      - .offset:         144
        .size:           4
        .value_kind:     hidden_dynamic_lds_size
    .group_segment_fixed_size: 0
    .kernarg_segment_align: 8
    .kernarg_segment_size: 280
    .language:       OpenCL C
    .language_version:
      - 2
      - 0
    .max_flat_workgroup_size: 1024
    .name:           _Z32kernel_cg_group_partition_staticILj16EEvPibS0_
    .private_segment_fixed_size: 0
    .sgpr_count:     34
    .sgpr_spill_count: 0
    .symbol:         _Z32kernel_cg_group_partition_staticILj16EEvPibS0_.kd
    .uniform_work_group_size: 1
    .uses_dynamic_stack: false
    .vgpr_count:     36
    .vgpr_spill_count: 0
    .wavefront_size: 64
  - .args:
      - .address_space:  global
        .offset:         0
        .size:           8
        .value_kind:     global_buffer
      - .offset:         8
        .size:           1
        .value_kind:     by_value
      - .address_space:  global
        .offset:         16
        .size:           8
        .value_kind:     global_buffer
      - .offset:         24
        .size:           4
        .value_kind:     hidden_block_count_x
      - .offset:         28
        .size:           4
        .value_kind:     hidden_block_count_y
      - .offset:         32
        .size:           4
        .value_kind:     hidden_block_count_z
      - .offset:         36
        .size:           2
        .value_kind:     hidden_group_size_x
      - .offset:         38
        .size:           2
        .value_kind:     hidden_group_size_y
      - .offset:         40
        .size:           2
        .value_kind:     hidden_group_size_z
      - .offset:         42
        .size:           2
        .value_kind:     hidden_remainder_x
      - .offset:         44
        .size:           2
        .value_kind:     hidden_remainder_y
      - .offset:         46
        .size:           2
        .value_kind:     hidden_remainder_z
      - .offset:         64
        .size:           8
        .value_kind:     hidden_global_offset_x
      - .offset:         72
        .size:           8
        .value_kind:     hidden_global_offset_y
      - .offset:         80
        .size:           8
        .value_kind:     hidden_global_offset_z
      - .offset:         88
        .size:           2
        .value_kind:     hidden_grid_dims
      - .offset:         104
        .size:           8
        .value_kind:     hidden_hostcall_buffer
      - .offset:         144
        .size:           4
        .value_kind:     hidden_dynamic_lds_size
    .group_segment_fixed_size: 0
    .kernarg_segment_align: 8
    .kernarg_segment_size: 280
    .language:       OpenCL C
    .language_version:
      - 2
      - 0
    .max_flat_workgroup_size: 1024
    .name:           _Z32kernel_cg_group_partition_staticILj32EEvPibS0_
    .private_segment_fixed_size: 0
    .sgpr_count:     34
    .sgpr_spill_count: 0
    .symbol:         _Z32kernel_cg_group_partition_staticILj32EEvPibS0_.kd
    .uniform_work_group_size: 1
    .uses_dynamic_stack: false
    .vgpr_count:     36
    .vgpr_spill_count: 0
    .wavefront_size: 64
amdhsa.target:   amdgcn-amd-amdhsa--gfx906
amdhsa.version:
  - 1
  - 2
...

	.end_amdgpu_metadata
